;; amdgpu-corpus repo=ROCm/rocFFT kind=compiled arch=gfx90a opt=O3
	.text
	.amdgcn_target "amdgcn-amd-amdhsa--gfx90a"
	.amdhsa_code_object_version 6
	.protected	fft_rtc_fwd_len884_factors_13_4_17_wgs_204_tpt_68_halfLds_sp_op_CI_CI_sbrr_dirReg ; -- Begin function fft_rtc_fwd_len884_factors_13_4_17_wgs_204_tpt_68_halfLds_sp_op_CI_CI_sbrr_dirReg
	.globl	fft_rtc_fwd_len884_factors_13_4_17_wgs_204_tpt_68_halfLds_sp_op_CI_CI_sbrr_dirReg
	.p2align	8
	.type	fft_rtc_fwd_len884_factors_13_4_17_wgs_204_tpt_68_halfLds_sp_op_CI_CI_sbrr_dirReg,@function
fft_rtc_fwd_len884_factors_13_4_17_wgs_204_tpt_68_halfLds_sp_op_CI_CI_sbrr_dirReg: ; @fft_rtc_fwd_len884_factors_13_4_17_wgs_204_tpt_68_halfLds_sp_op_CI_CI_sbrr_dirReg
; %bb.0:
	s_load_dwordx4 s[16:19], s[4:5], 0x18
	s_load_dwordx4 s[12:15], s[4:5], 0x0
	;; [unrolled: 1-line block ×3, first 2 shown]
	v_mul_u32_u24_e32 v1, 0x3c4, v0
	v_lshrrev_b32_e32 v2, 16, v1
	s_waitcnt lgkmcnt(0)
	s_load_dwordx2 s[22:23], s[16:17], 0x0
	s_load_dwordx2 s[20:21], s[18:19], 0x0
	v_mad_u64_u32 v[22:23], s[0:1], s6, 3, v[2:3]
	v_mov_b32_e32 v2, 0
	v_mov_b32_e32 v23, v2
	v_cmp_lt_u64_e64 s[0:1], s[14:15], 2
	v_pk_mov_b32 v[34:35], 0, 0
	s_and_b64 vcc, exec, s[0:1]
	v_pk_mov_b32 v[28:29], v[34:35], v[34:35] op_sel:[0,1]
	v_pk_mov_b32 v[4:5], v[22:23], v[22:23] op_sel:[0,1]
	s_cbranch_vccnz .LBB0_8
; %bb.1:
	s_load_dwordx2 s[0:1], s[4:5], 0x10
	s_add_u32 s2, s18, 8
	s_addc_u32 s3, s19, 0
	s_add_u32 s6, s16, 8
	s_addc_u32 s7, s17, 0
	s_waitcnt lgkmcnt(0)
	s_add_u32 s24, s0, 8
	v_pk_mov_b32 v[34:35], 0, 0
	s_addc_u32 s25, s1, 0
	s_mov_b64 s[26:27], 1
	v_pk_mov_b32 v[28:29], v[34:35], v[34:35] op_sel:[0,1]
	v_pk_mov_b32 v[6:7], v[22:23], v[22:23] op_sel:[0,1]
.LBB0_2:                                ; =>This Inner Loop Header: Depth=1
	s_load_dwordx2 s[28:29], s[24:25], 0x0
                                        ; implicit-def: $vgpr4_vgpr5
	s_waitcnt lgkmcnt(0)
	v_or_b32_e32 v3, s29, v7
	v_cmp_ne_u64_e32 vcc, 0, v[2:3]
	s_and_saveexec_b64 s[0:1], vcc
	s_xor_b64 s[30:31], exec, s[0:1]
	s_cbranch_execz .LBB0_4
; %bb.3:                                ;   in Loop: Header=BB0_2 Depth=1
	v_cvt_f32_u32_e32 v1, s28
	v_cvt_f32_u32_e32 v3, s29
	s_sub_u32 s0, 0, s28
	s_subb_u32 s1, 0, s29
	v_mac_f32_e32 v1, 0x4f800000, v3
	v_rcp_f32_e32 v1, v1
	v_mul_f32_e32 v1, 0x5f7ffffc, v1
	v_mul_f32_e32 v3, 0x2f800000, v1
	v_trunc_f32_e32 v3, v3
	v_mac_f32_e32 v1, 0xcf800000, v3
	v_cvt_u32_f32_e32 v3, v3
	v_cvt_u32_f32_e32 v1, v1
	v_mul_lo_u32 v4, s0, v3
	v_mul_hi_u32 v8, s0, v1
	v_mul_lo_u32 v5, s1, v1
	v_add_u32_e32 v4, v8, v4
	v_mul_lo_u32 v9, s0, v1
	v_add_u32_e32 v4, v4, v5
	v_mul_hi_u32 v8, v1, v9
	v_mul_lo_u32 v10, v1, v4
	v_mul_hi_u32 v5, v1, v4
	v_add_co_u32_e32 v8, vcc, v8, v10
	v_addc_co_u32_e32 v5, vcc, 0, v5, vcc
	v_mul_hi_u32 v11, v3, v9
	v_mul_lo_u32 v9, v3, v9
	v_add_co_u32_e32 v8, vcc, v8, v9
	v_mul_hi_u32 v10, v3, v4
	v_addc_co_u32_e32 v5, vcc, v5, v11, vcc
	v_addc_co_u32_e32 v8, vcc, 0, v10, vcc
	v_mul_lo_u32 v4, v3, v4
	v_add_co_u32_e32 v4, vcc, v5, v4
	v_addc_co_u32_e32 v5, vcc, 0, v8, vcc
	v_add_co_u32_e32 v1, vcc, v1, v4
	v_addc_co_u32_e32 v3, vcc, v3, v5, vcc
	v_mul_lo_u32 v4, s0, v3
	v_mul_hi_u32 v5, s0, v1
	v_add_u32_e32 v4, v5, v4
	v_mul_lo_u32 v5, s1, v1
	v_add_u32_e32 v4, v4, v5
	v_mul_lo_u32 v8, s0, v1
	v_mul_hi_u32 v9, v3, v8
	v_mul_lo_u32 v10, v3, v8
	v_mul_lo_u32 v12, v1, v4
	v_mul_hi_u32 v8, v1, v8
	v_mul_hi_u32 v11, v1, v4
	v_add_co_u32_e32 v8, vcc, v8, v12
	v_addc_co_u32_e32 v11, vcc, 0, v11, vcc
	v_add_co_u32_e32 v8, vcc, v8, v10
	v_mul_hi_u32 v5, v3, v4
	v_addc_co_u32_e32 v8, vcc, v11, v9, vcc
	v_addc_co_u32_e32 v5, vcc, 0, v5, vcc
	v_mul_lo_u32 v4, v3, v4
	v_add_co_u32_e32 v4, vcc, v8, v4
	v_addc_co_u32_e32 v5, vcc, 0, v5, vcc
	v_add_co_u32_e32 v1, vcc, v1, v4
	v_addc_co_u32_e32 v3, vcc, v3, v5, vcc
	v_mad_u64_u32 v[4:5], s[0:1], v6, v3, 0
	v_mul_hi_u32 v8, v6, v1
	v_add_co_u32_e32 v10, vcc, v8, v4
	v_addc_co_u32_e32 v11, vcc, 0, v5, vcc
	v_mad_u64_u32 v[8:9], s[0:1], v7, v1, 0
	v_add_co_u32_e32 v1, vcc, v10, v8
	v_mad_u64_u32 v[4:5], s[0:1], v7, v3, 0
	v_addc_co_u32_e32 v1, vcc, v11, v9, vcc
	v_addc_co_u32_e32 v3, vcc, 0, v5, vcc
	v_add_co_u32_e32 v1, vcc, v1, v4
	v_addc_co_u32_e32 v3, vcc, 0, v3, vcc
	v_mul_lo_u32 v8, s29, v1
	v_mul_lo_u32 v9, s28, v3
	v_mad_u64_u32 v[4:5], s[0:1], s28, v1, 0
	v_add3_u32 v5, v5, v9, v8
	v_sub_u32_e32 v8, v7, v5
	v_mov_b32_e32 v9, s29
	v_sub_co_u32_e32 v4, vcc, v6, v4
	v_subb_co_u32_e64 v8, s[0:1], v8, v9, vcc
	v_subrev_co_u32_e64 v9, s[0:1], s28, v4
	v_subbrev_co_u32_e64 v8, s[0:1], 0, v8, s[0:1]
	v_cmp_le_u32_e64 s[0:1], s29, v8
	v_cndmask_b32_e64 v10, 0, -1, s[0:1]
	v_cmp_le_u32_e64 s[0:1], s28, v9
	v_cndmask_b32_e64 v9, 0, -1, s[0:1]
	v_cmp_eq_u32_e64 s[0:1], s29, v8
	v_cndmask_b32_e64 v8, v10, v9, s[0:1]
	v_add_co_u32_e64 v9, s[0:1], 2, v1
	v_addc_co_u32_e64 v10, s[0:1], 0, v3, s[0:1]
	v_add_co_u32_e64 v11, s[0:1], 1, v1
	v_addc_co_u32_e64 v12, s[0:1], 0, v3, s[0:1]
	v_subb_co_u32_e32 v5, vcc, v7, v5, vcc
	v_cmp_ne_u32_e64 s[0:1], 0, v8
	v_cmp_le_u32_e32 vcc, s29, v5
	v_cndmask_b32_e64 v8, v12, v10, s[0:1]
	v_cndmask_b32_e64 v10, 0, -1, vcc
	v_cmp_le_u32_e32 vcc, s28, v4
	v_cndmask_b32_e64 v4, 0, -1, vcc
	v_cmp_eq_u32_e32 vcc, s29, v5
	v_cndmask_b32_e32 v4, v10, v4, vcc
	v_cmp_ne_u32_e32 vcc, 0, v4
	v_cndmask_b32_e32 v5, v3, v8, vcc
	v_cndmask_b32_e64 v3, v11, v9, s[0:1]
	v_cndmask_b32_e32 v4, v1, v3, vcc
.LBB0_4:                                ;   in Loop: Header=BB0_2 Depth=1
	s_andn2_saveexec_b64 s[0:1], s[30:31]
	s_cbranch_execz .LBB0_6
; %bb.5:                                ;   in Loop: Header=BB0_2 Depth=1
	v_cvt_f32_u32_e32 v1, s28
	s_sub_i32 s30, 0, s28
	v_rcp_iflag_f32_e32 v1, v1
	v_mul_f32_e32 v1, 0x4f7ffffe, v1
	v_cvt_u32_f32_e32 v1, v1
	v_mul_lo_u32 v3, s30, v1
	v_mul_hi_u32 v3, v1, v3
	v_add_u32_e32 v1, v1, v3
	v_mul_hi_u32 v1, v6, v1
	v_mul_lo_u32 v3, v1, s28
	v_sub_u32_e32 v3, v6, v3
	v_add_u32_e32 v4, 1, v1
	v_subrev_u32_e32 v5, s28, v3
	v_cmp_le_u32_e32 vcc, s28, v3
	v_cndmask_b32_e32 v3, v3, v5, vcc
	v_cndmask_b32_e32 v1, v1, v4, vcc
	v_add_u32_e32 v4, 1, v1
	v_cmp_le_u32_e32 vcc, s28, v3
	v_cndmask_b32_e32 v4, v1, v4, vcc
	v_mov_b32_e32 v5, v2
.LBB0_6:                                ;   in Loop: Header=BB0_2 Depth=1
	s_or_b64 exec, exec, s[0:1]
	v_mad_u64_u32 v[8:9], s[0:1], v4, s28, 0
	s_load_dwordx2 s[0:1], s[6:7], 0x0
	v_mul_lo_u32 v1, v5, s28
	v_mul_lo_u32 v3, v4, s29
	s_load_dwordx2 s[28:29], s[2:3], 0x0
	s_add_u32 s26, s26, 1
	v_add3_u32 v1, v9, v3, v1
	v_sub_co_u32_e32 v3, vcc, v6, v8
	s_addc_u32 s27, s27, 0
	v_subb_co_u32_e32 v1, vcc, v7, v1, vcc
	s_add_u32 s2, s2, 8
	s_waitcnt lgkmcnt(0)
	v_mul_lo_u32 v6, s0, v1
	v_mul_lo_u32 v7, s1, v3
	v_mad_u64_u32 v[34:35], s[0:1], s0, v3, v[34:35]
	s_addc_u32 s3, s3, 0
	v_add3_u32 v35, v7, v35, v6
	v_mul_lo_u32 v1, s28, v1
	v_mul_lo_u32 v6, s29, v3
	v_mad_u64_u32 v[28:29], s[0:1], s28, v3, v[28:29]
	s_add_u32 s6, s6, 8
	v_add3_u32 v29, v6, v29, v1
	s_addc_u32 s7, s7, 0
	v_pk_mov_b32 v[6:7], s[14:15], s[14:15] op_sel:[0,1]
	s_add_u32 s24, s24, 8
	v_cmp_ge_u64_e32 vcc, s[26:27], v[6:7]
	s_addc_u32 s25, s25, 0
	s_cbranch_vccnz .LBB0_8
; %bb.7:                                ;   in Loop: Header=BB0_2 Depth=1
	v_pk_mov_b32 v[6:7], v[4:5], v[4:5] op_sel:[0,1]
	s_branch .LBB0_2
.LBB0_8:
	s_load_dwordx2 s[0:1], s[4:5], 0x28
	s_lshl_b64 s[6:7], s[14:15], 3
	s_add_u32 s2, s18, s6
	s_addc_u32 s3, s19, s7
                                        ; implicit-def: $sgpr14_sgpr15
                                        ; implicit-def: $vgpr62
                                        ; implicit-def: $vgpr57
                                        ; implicit-def: $vgpr56
                                        ; implicit-def: $vgpr58
	s_waitcnt lgkmcnt(0)
	v_cmp_gt_u64_e32 vcc, s[0:1], v[4:5]
	v_cmp_le_u64_e64 s[0:1], s[0:1], v[4:5]
	s_and_saveexec_b64 s[4:5], s[0:1]
	s_xor_b64 s[0:1], exec, s[4:5]
; %bb.9:
	s_mov_b32 s4, 0x3c3c3c4
	v_mul_hi_u32 v1, v0, s4
	v_mul_u32_u24_e32 v1, 0x44, v1
	v_sub_u32_e32 v62, v0, v1
	v_add_u32_e32 v57, 0x44, v62
	v_add_u32_e32 v56, 0x88, v62
	;; [unrolled: 1-line block ×3, first 2 shown]
	s_mov_b64 s[14:15], 0
                                        ; implicit-def: $vgpr0
                                        ; implicit-def: $vgpr34_vgpr35
; %bb.10:
	s_or_saveexec_b64 s[4:5], s[0:1]
	v_pk_mov_b32 v[2:3], s[14:15], s[14:15] op_sel:[0,1]
                                        ; implicit-def: $vgpr32
                                        ; implicit-def: $vgpr12
                                        ; implicit-def: $vgpr6
                                        ; implicit-def: $vgpr10
                                        ; implicit-def: $vgpr14
                                        ; implicit-def: $vgpr8
                                        ; implicit-def: $vgpr16
                                        ; implicit-def: $vgpr24
                                        ; implicit-def: $vgpr26
                                        ; implicit-def: $vgpr30
                                        ; implicit-def: $vgpr18
                                        ; implicit-def: $vgpr20
	s_xor_b64 exec, exec, s[4:5]
	s_cbranch_execz .LBB0_12
; %bb.11:
	s_add_u32 s0, s16, s6
	s_addc_u32 s1, s17, s7
	s_load_dwordx2 s[0:1], s[0:1], 0x0
	s_mov_b32 s6, 0x3c3c3c4
	s_waitcnt lgkmcnt(0)
	v_mul_lo_u32 v1, s1, v4
	v_mul_lo_u32 v6, s0, v5
	v_mad_u64_u32 v[2:3], s[0:1], s0, v4, 0
	v_add3_u32 v3, v3, v6, v1
	v_mul_hi_u32 v1, v0, s6
	v_mul_u32_u24_e32 v1, 0x44, v1
	v_sub_u32_e32 v62, v0, v1
	v_mad_u64_u32 v[0:1], s[0:1], s22, v62, 0
	v_mov_b32_e32 v6, v1
	v_mad_u64_u32 v[6:7], s[0:1], s23, v62, v[6:7]
	v_lshlrev_b64 v[2:3], 3, v[2:3]
	v_mov_b32_e32 v1, v6
	v_mov_b32_e32 v6, s9
	v_add_co_u32_e64 v7, s[0:1], s8, v2
	v_addc_co_u32_e64 v6, s[0:1], v6, v3, s[0:1]
	v_lshlrev_b64 v[2:3], 3, v[34:35]
	v_add_co_u32_e64 v23, s[0:1], v7, v2
	v_addc_co_u32_e64 v38, s[0:1], v6, v3, s[0:1]
	v_lshlrev_b64 v[0:1], 3, v[0:1]
	v_add_co_u32_e64 v0, s[0:1], v23, v0
	v_add_u32_e32 v57, 0x44, v62
	v_addc_co_u32_e64 v1, s[0:1], v38, v1, s[0:1]
	v_mad_u64_u32 v[2:3], s[0:1], s22, v57, 0
	v_mov_b32_e32 v6, v3
	v_mad_u64_u32 v[6:7], s[0:1], s23, v57, v[6:7]
	v_mov_b32_e32 v3, v6
	v_lshlrev_b64 v[2:3], 3, v[2:3]
	v_add_co_u32_e64 v8, s[0:1], v23, v2
	v_add_u32_e32 v56, 0x88, v62
	v_addc_co_u32_e64 v9, s[0:1], v38, v3, s[0:1]
	v_mad_u64_u32 v[2:3], s[0:1], s22, v56, 0
	v_mov_b32_e32 v6, v3
	v_mad_u64_u32 v[6:7], s[0:1], s23, v56, v[6:7]
	v_mov_b32_e32 v3, v6
	v_lshlrev_b64 v[2:3], 3, v[2:3]
	v_add_co_u32_e64 v12, s[0:1], v23, v2
	v_add_u32_e32 v58, 0xcc, v62
	v_addc_co_u32_e64 v13, s[0:1], v38, v3, s[0:1]
	v_mad_u64_u32 v[2:3], s[0:1], s22, v58, 0
	v_mov_b32_e32 v6, v3
	v_mad_u64_u32 v[6:7], s[0:1], s23, v58, v[6:7]
	v_mov_b32_e32 v3, v6
	v_lshlrev_b64 v[2:3], 3, v[2:3]
	v_add_co_u32_e64 v14, s[0:1], v23, v2
	v_addc_co_u32_e64 v15, s[0:1], v38, v3, s[0:1]
	global_load_dwordx2 v[2:3], v[0:1], off
	global_load_dwordx2 v[34:35], v[8:9], off
	global_load_dwordx2 v[6:7], v[12:13], off
	global_load_dwordx2 v[10:11], v[14:15], off
	v_add_u32_e32 v9, 0x110, v62
	v_mad_u64_u32 v[0:1], s[0:1], s22, v9, 0
	v_mov_b32_e32 v8, v1
	v_mad_u64_u32 v[8:9], s[0:1], s23, v9, v[8:9]
	v_mov_b32_e32 v1, v8
	v_lshlrev_b64 v[0:1], 3, v[0:1]
	v_add_co_u32_e64 v0, s[0:1], v23, v0
	v_add_u32_e32 v13, 0x154, v62
	v_addc_co_u32_e64 v1, s[0:1], v38, v1, s[0:1]
	v_mad_u64_u32 v[8:9], s[0:1], s22, v13, 0
	v_mov_b32_e32 v12, v9
	v_mad_u64_u32 v[12:13], s[0:1], s23, v13, v[12:13]
	v_mov_b32_e32 v9, v12
	v_lshlrev_b64 v[8:9], 3, v[8:9]
	v_add_co_u32_e64 v18, s[0:1], v23, v8
	v_add_u32_e32 v13, 0x198, v62
	v_addc_co_u32_e64 v19, s[0:1], v38, v9, s[0:1]
	v_mad_u64_u32 v[8:9], s[0:1], s22, v13, 0
	v_mov_b32_e32 v12, v9
	v_mad_u64_u32 v[12:13], s[0:1], s23, v13, v[12:13]
	v_mov_b32_e32 v9, v12
	v_lshlrev_b64 v[8:9], 3, v[8:9]
	v_add_co_u32_e64 v20, s[0:1], v23, v8
	v_add_u32_e32 v13, 0x1dc, v62
	v_addc_co_u32_e64 v21, s[0:1], v38, v9, s[0:1]
	v_mad_u64_u32 v[8:9], s[0:1], s22, v13, 0
	v_mov_b32_e32 v12, v9
	v_mad_u64_u32 v[12:13], s[0:1], s23, v13, v[12:13]
	v_mov_b32_e32 v9, v12
	v_lshlrev_b64 v[8:9], 3, v[8:9]
	v_add_co_u32_e64 v24, s[0:1], v23, v8
	v_addc_co_u32_e64 v25, s[0:1], v38, v9, s[0:1]
	global_load_dwordx2 v[12:13], v[0:1], off
	global_load_dwordx2 v[14:15], v[18:19], off
	global_load_dwordx2 v[8:9], v[20:21], off
	global_load_dwordx2 v[16:17], v[24:25], off
	v_add_u32_e32 v19, 0x220, v62
	v_mad_u64_u32 v[0:1], s[0:1], s22, v19, 0
	v_mov_b32_e32 v18, v1
	v_mad_u64_u32 v[18:19], s[0:1], s23, v19, v[18:19]
	v_mov_b32_e32 v1, v18
	;; [unrolled: 36-line block ×3, first 2 shown]
	v_lshlrev_b64 v[0:1], 3, v[0:1]
	v_add_co_u32_e64 v0, s[0:1], v23, v0
	v_addc_co_u32_e64 v1, s[0:1], v38, v1, s[0:1]
	global_load_dwordx2 v[18:19], v[0:1], off
	s_waitcnt vmcnt(11)
	v_mov_b32_e32 v33, v35
	s_waitcnt vmcnt(8)
	v_mov_b32_e32 v32, v13
	v_mov_b32_e32 v13, v34
.LBB0_12:
	s_or_b64 exec, exec, s[4:5]
	s_mov_b32 s0, 0xaaaaaaab
	v_mul_hi_u32 v0, v22, s0
	v_lshrrev_b32_e32 v0, 1, v0
	v_lshl_add_u32 v0, v0, 1, v0
	v_sub_u32_e32 v59, v22, v0
	v_add_f32_e32 v0, v13, v2
	v_add_f32_e32 v0, v6, v0
	v_add_f32_e32 v38, v10, v0
	s_mov_b32 s16, 0xbf3f9e67
	s_mov_b32 s18, 0xbeb58ec6
	s_waitcnt vmcnt(0)
	v_mov_b32_e32 v39, v18
	s_mov_b32 s26, 0x3df6dbef
	s_mov_b32 s17, 0xbf29c268
	s_mov_b32 s19, 0xbf6f5d39
	v_pk_add_f32 v[52:53], v[12:13], v[38:39]
	s_mov_b32 s44, s18
	s_mov_b32 s45, s16
	v_pk_add_f32 v[22:23], v[32:33], v[18:19] neg_lo:[0,1] neg_hi:[0,1]
	v_pk_add_f32 v[0:1], v[6:7], v[20:21]
	s_mov_b32 s22, 0x3f116cb1
	s_mov_b32 s5, 0x3f62ad3f
	;; [unrolled: 1-line block ×9, first 2 shown]
	v_pk_mul_f32 v[70:71], v[52:53], s[44:45] op_sel:[1,0]
	s_mov_b32 s8, 0xbf788fa5
	v_pk_add_f32 v[34:35], v[6:7], v[20:21] neg_lo:[0,1] neg_hi:[0,1]
	s_mov_b32 s23, 0xbf52af12
	s_mov_b32 s15, 0x3eedf032
	v_pk_add_f32 v[42:43], v[10:11], v[30:31]
	v_mov_b32_e32 v40, v12
	v_mov_b32_e32 v41, v32
	v_pk_mul_f32 v[64:65], v[0:1], s[28:29] op_sel_hi:[0,1]
	s_mov_b32 s38, s14
	s_mov_b32 s39, s24
	;; [unrolled: 1-line block ×4, first 2 shown]
	v_pk_fma_f32 v[44:45], v[22:23], s[36:37], v[70:71] op_sel:[1,0,0]
	s_mov_b32 s9, 0xbe750f2a
	v_pk_add_f32 v[36:37], v[10:11], v[30:31] neg_lo:[0,1] neg_hi:[0,1]
	v_pk_add_f32 v[50:51], v[40:41], v[26:27]
	v_pk_mul_f32 v[66:67], v[42:43], s[30:31] op_sel_hi:[0,1]
	s_mov_b32 s40, s15
	s_mov_b32 s41, s23
	s_mov_b32 s34, s26
	s_mov_b32 s35, s8
	v_pk_fma_f32 v[38:39], v[34:35], s[38:39], v[64:65] op_sel:[1,0,0]
	v_pk_add_f32 v[44:45], v[44:45], v[2:3] op_sel_hi:[1,0]
	v_pk_add_f32 v[40:41], v[40:41], v[26:27] neg_lo:[0,1] neg_hi:[0,1]
	v_pk_mul_f32 v[68:69], v[50:51], s[34:35] op_sel_hi:[0,1]
	s_mov_b32 s43, 0x3e750f2a
	s_mov_b32 s42, s27
	v_pk_add_f32 v[38:39], v[38:39], v[44:45]
	v_pk_fma_f32 v[44:45], v[36:37], s[40:41], v[66:67] op_sel:[1,0,0]
	v_pk_add_f32 v[38:39], v[44:45], v[38:39]
	v_pk_fma_f32 v[44:45], v[40:41], s[42:43], v[68:69] op_sel:[1,0,0]
	v_pk_add_f32 v[44:45], v[44:45], v[38:39]
	v_pk_add_f32 v[38:39], v[14:15], v[24:25]
	s_mov_b32 s46, s8
	s_mov_b32 s47, s5
	;; [unrolled: 1-line block ×4, first 2 shown]
	v_pk_add_f32 v[48:49], v[14:15], v[24:25] neg_lo:[0,1] neg_hi:[0,1]
	v_pk_mul_f32 v[72:73], v[38:39], s[46:47] op_sel_hi:[0,1]
	v_pk_fma_f32 v[46:47], v[48:49], s[50:51], v[72:73] op_sel:[1,0,0]
	v_pk_add_f32 v[54:55], v[46:47], v[44:45]
	s_mov_b32 s48, s22
	s_mov_b32 s49, s18
	v_pk_add_f32 v[44:45], v[8:9], v[16:17]
	s_mov_b32 s52, 0x3f52af12
	s_mov_b32 s53, s19
	v_pk_add_f32 v[46:47], v[8:9], v[16:17] neg_lo:[0,1] neg_hi:[0,1]
	v_pk_mul_f32 v[74:75], v[44:45], s[48:49] op_sel_hi:[0,1]
	v_mul_u32_u24_e32 v102, 0x374, v59
	v_pk_fma_f32 v[60:61], v[46:47], s[52:53], v[74:75] op_sel:[1,0,0]
	v_lshl_add_u32 v63, v102, 2, 0
	v_pk_add_f32 v[54:55], v[60:61], v[54:55]
	v_mad_u32_u24 v61, v62, 52, v63
	ds_write2_b32 v61, v55, v54 offset0:8 offset1:9
	v_mov_b32_e32 v54, v0
	v_mov_b32_e32 v55, v35
	v_pk_mul_f32 v[76:77], v[54:55], s[22:23]
	v_mov_b32_e32 v59, v76
	v_pk_fma_f32 v[78:79], v[54:55], s[22:23], v[58:59] neg_lo:[1,0,0] neg_hi:[1,0,0]
	v_mov_b32_e32 v54, v42
	v_mov_b32_e32 v55, v37
	v_pk_mul_f32 v[80:81], v[54:55], s[26:27]
	v_mov_b32_e32 v59, v80
	v_pk_fma_f32 v[82:83], v[54:55], s[26:27], v[58:59] neg_lo:[1,0,0] neg_hi:[1,0,0]
	v_mov_b32_e32 v54, v50
	v_mov_b32_e32 v55, v41
	v_pk_mul_f32 v[84:85], v[54:55], s[18:19]
	v_mov_b32_e32 v59, v84
	v_pk_fma_f32 v[86:87], v[54:55], s[18:19], v[58:59] neg_lo:[1,0,0] neg_hi:[1,0,0]
	v_mov_b32_e32 v54, v38
	v_mov_b32_e32 v55, v49
	v_pk_mul_f32 v[88:89], v[54:55], s[16:17]
	v_mov_b32_e32 v59, v88
	v_pk_fma_f32 v[90:91], v[54:55], s[16:17], v[58:59] neg_lo:[1,0,0] neg_hi:[1,0,0]
	v_mov_b32_e32 v54, v44
	v_mov_b32_e32 v55, v47
	v_pk_mul_f32 v[92:93], v[54:55], s[8:9]
	v_mov_b32_e32 v59, v92
	v_pk_fma_f32 v[94:95], v[54:55], s[8:9], v[58:59] neg_lo:[1,0,0] neg_hi:[1,0,0]
	v_mov_b32_e32 v55, 0x3f62ad3f
	v_mov_b32_e32 v54, v14
	v_mul_f32_e32 v97, 0xbeedf032, v23
	v_mov_b32_e32 v96, v8
	v_pk_add_f32 v[98:99], v[14:15], v[52:53]
	v_pk_add_f32 v[98:99], v[98:99], v[8:9]
	v_pk_fma_f32 v[96:97], v[54:55], v[52:53], v[96:97] neg_lo:[0,0,1] neg_hi:[0,0,1]
	v_mov_b32_e32 v99, v97
	v_mov_b32_e32 v96, v16
	;; [unrolled: 1-line block ×3, first 2 shown]
	v_pk_add_f32 v[96:97], v[96:97], v[98:99]
	v_mov_b32_e32 v78, v24
	v_pk_add_f32 v[78:79], v[78:79], v[96:97]
	v_mov_b32_e32 v82, v26
	;; [unrolled: 2-line block ×3, first 2 shown]
	v_pk_fma_f32 v[70:71], v[22:23], s[36:37], v[70:71] op_sel:[1,0,0] neg_lo:[1,0,0] neg_hi:[1,0,0]
	v_pk_add_f32 v[78:79], v[86:87], v[78:79]
	v_mov_b32_e32 v90, v20
	v_pk_fma_f32 v[64:65], v[34:35], s[38:39], v[64:65] op_sel:[1,0,0] neg_lo:[1,0,0] neg_hi:[1,0,0]
	v_pk_add_f32 v[70:71], v[70:71], v[2:3] op_sel_hi:[1,0]
	v_pk_add_f32 v[78:79], v[90:91], v[78:79]
	v_mov_b32_e32 v94, v18
	v_pk_add_f32 v[64:65], v[64:65], v[70:71]
	v_pk_fma_f32 v[66:67], v[36:37], s[40:41], v[66:67] op_sel:[1,0,0] neg_lo:[1,0,0] neg_hi:[1,0,0]
	v_pk_add_f32 v[78:79], v[94:95], v[78:79]
	s_mov_b32 s56, s22
	s_mov_b32 s57, s26
	v_pk_add_f32 v[64:65], v[66:67], v[64:65]
	v_pk_fma_f32 v[66:67], v[40:41], s[42:43], v[68:69] op_sel:[1,0,0] neg_lo:[1,0,0] neg_hi:[1,0,0]
	ds_write2_b32 v61, v78, v79 offset1:1
	s_mov_b32 s62, s23
	s_mov_b32 s63, s27
	;; [unrolled: 1-line block ×4, first 2 shown]
	v_pk_mul_f32 v[78:79], v[52:53], s[56:57] op_sel:[1,0]
	v_pk_add_f32 v[64:65], v[66:67], v[64:65]
	v_pk_fma_f32 v[66:67], v[48:49], s[50:51], v[72:73] op_sel:[1,0,0] neg_lo:[1,0,0] neg_hi:[1,0,0]
	s_mov_b32 s64, s19
	s_mov_b32 s65, s9
	v_pk_fma_f32 v[82:83], v[22:23], s[62:63], v[78:79] op_sel:[1,0,0] neg_lo:[1,0,0] neg_hi:[1,0,0]
	v_pk_mul_f32 v[86:87], v[0:1], s[54:55] op_sel_hi:[0,1]
	v_pk_add_f32 v[64:65], v[66:67], v[64:65]
	v_pk_fma_f32 v[66:67], v[46:47], s[52:53], v[74:75] op_sel:[1,0,0] neg_lo:[1,0,0] neg_hi:[1,0,0]
	v_pk_add_f32 v[82:83], v[82:83], v[2:3] op_sel_hi:[1,0]
	v_pk_fma_f32 v[90:91], v[34:35], s[64:65], v[86:87] op_sel:[1,0,0] neg_lo:[1,0,0] neg_hi:[1,0,0]
	s_mov_b32 s58, s8
	s_mov_b32 s59, s18
	v_pk_add_f32 v[64:65], v[66:67], v[64:65]
	v_mul_f32_e32 v8, 0x3f62ad3f, v0
	v_mul_f32_e32 v14, 0x3eedf032, v35
	v_pk_add_f32 v[82:83], v[90:91], v[82:83]
	s_mov_b32 s69, 0x3f6f5d39
	s_mov_b32 s68, s9
	v_pk_mul_f32 v[90:91], v[42:43], s[58:59] op_sel_hi:[0,1]
	ds_write2_b32 v61, v64, v65 offset0:4 offset1:5
	v_pk_add_f32 v[64:65], v[8:9], v[14:15] neg_lo:[0,1] neg_hi:[0,1]
	v_pk_add_f32 v[66:67], v[8:9], v[14:15]
	v_mul_f32_e32 v8, 0xbf3f9e67, v42
	v_mul_f32_e32 v14, 0xbf29c268, v37
	v_pk_fma_f32 v[94:95], v[36:37], s[68:69], v[90:91] op_sel:[1,0,0] neg_lo:[1,0,0] neg_hi:[1,0,0]
	s_mov_b32 s4, s16
	v_mov_b32_e32 v65, v66
	v_pk_add_f32 v[42:43], v[8:9], v[14:15] neg_lo:[0,1] neg_hi:[0,1]
	v_pk_add_f32 v[66:67], v[8:9], v[14:15]
	v_mul_f32_e32 v8, 0x3f116cb1, v50
	v_mul_f32_e32 v14, 0x3f52af12, v41
	v_pk_add_f32 v[82:83], v[94:95], v[82:83]
	v_pk_mul_f32 v[94:95], v[50:51], s[4:5] op_sel_hi:[0,1]
	v_mov_b32_e32 v43, v66
	v_pk_add_f32 v[50:51], v[8:9], v[14:15] neg_lo:[0,1] neg_hi:[0,1]
	v_pk_add_f32 v[66:67], v[8:9], v[14:15]
	v_mul_f32_e32 v8, 0xbeb58ec6, v38
	v_mul_f32_e32 v14, 0xbf6f5d39, v49
	v_mov_b32_e32 v51, v66
	v_pk_add_f32 v[66:67], v[8:9], v[14:15] neg_lo:[0,1] neg_hi:[0,1]
	v_pk_add_f32 v[68:69], v[8:9], v[14:15]
	v_mul_f32_e32 v8, 0x3df6dbef, v44
	v_mul_f32_e32 v14, 0x3f7e222b, v47
	;; [unrolled: 5-line block ×3, first 2 shown]
	v_mov_b32_e32 v69, v70
	v_pk_add_f32 v[70:71], v[14:15], v[8:9] neg_lo:[0,1] neg_hi:[0,1]
	v_pk_add_f32 v[72:73], v[14:15], v[8:9]
	v_mov_b32_e32 v71, v72
	v_pk_add_f32 v[70:71], v[70:71], v[2:3] op_sel_hi:[1,0]
	v_pk_add_f32 v[64:65], v[64:65], v[70:71]
	v_pk_add_f32 v[42:43], v[42:43], v[64:65]
	;; [unrolled: 1-line block ×5, first 2 shown]
	ds_write2_b32 v61, v42, v43 offset0:6 offset1:7
	v_pk_mul_f32 v[42:43], v[54:55], v[52:53]
	v_fmac_f32_e32 v43, 0xbeedf032, v23
	v_add_f32_e32 v8, v77, v76
	v_add_f32_e32 v42, v43, v2
	v_pk_fma_f32 v[22:23], v[22:23], s[62:63], v[78:79] op_sel:[1,0,0]
	v_pk_fma_f32 v[96:97], v[40:41], s[14:15], v[94:95] op_sel:[1,0,0] neg_lo:[1,0,0] neg_hi:[1,0,0]
	s_mov_b32 s60, s26
	s_mov_b32 s61, s22
	v_pk_fma_f32 v[34:35], v[34:35], s[64:65], v[86:87] op_sel:[1,0,0]
	v_add_f32_e32 v14, v81, v80
	v_add_f32_e32 v8, v8, v42
	v_pk_add_f32 v[22:23], v[22:23], v[2:3] op_sel_hi:[1,0]
	v_pk_add_f32 v[82:83], v[96:97], v[82:83]
	s_mov_b32 s25, s23
	v_pk_mul_f32 v[96:97], v[38:39], s[60:61] op_sel_hi:[0,1]
	v_pk_fma_f32 v[36:37], v[36:37], s[68:69], v[90:91] op_sel:[1,0,0]
	v_add_f32_e32 v16, v85, v84
	v_add_f32_e32 v8, v14, v8
	v_pk_add_f32 v[22:23], v[34:35], v[22:23]
	v_pk_fma_f32 v[98:99], v[48:49], s[24:25], v[96:97] op_sel:[1,0,0] neg_lo:[1,0,0] neg_hi:[1,0,0]
	s_mov_b32 s66, s5
	s_mov_b32 s67, s16
	v_pk_fma_f32 v[40:41], v[40:41], s[14:15], v[94:95] op_sel:[1,0,0]
	v_add_f32_e32 v24, v89, v88
	v_add_f32_e32 v8, v16, v8
	v_pk_add_f32 v[22:23], v[36:37], v[22:23]
	v_pk_add_f32 v[82:83], v[98:99], v[82:83]
	s_mov_b32 s70, s15
	s_mov_b32 s71, s17
	v_pk_mul_f32 v[98:99], v[44:45], s[66:67] op_sel_hi:[0,1]
	v_add_f32_e32 v50, v93, v92
	v_add_f32_e32 v8, v24, v8
	v_pk_fma_f32 v[42:43], v[48:49], s[24:25], v[96:97] op_sel:[1,0,0]
	v_pk_add_f32 v[22:23], v[40:41], v[22:23]
	v_add_f32_e32 v60, v50, v8
	v_pk_fma_f32 v[50:51], v[46:47], s[70:71], v[98:99] op_sel:[1,0,0]
	v_pk_add_f32 v[22:23], v[42:43], v[22:23]
	s_movk_i32 s0, 0xffd0
	v_pk_fma_f32 v[100:101], v[46:47], s[70:71], v[98:99] op_sel:[1,0,0] neg_lo:[1,0,0] neg_hi:[1,0,0]
	v_pk_add_f32 v[22:23], v[50:51], v[22:23]
	v_mad_i32_i24 v50, v62, s0, v61
	v_pk_add_f32 v[82:83], v[100:101], v[82:83]
	v_add_u32_e32 v14, 0x200, v50
	v_lshl_add_u32 v67, v57, 2, v63
	ds_write2_b32 v61, v82, v83 offset0:2 offset1:3
	s_load_dwordx2 s[6:7], s[2:3], 0x0
	ds_write2_b32 v61, v23, v22 offset0:10 offset1:11
	ds_write_b32 v61, v60 offset:48
	s_waitcnt lgkmcnt(0)
	s_barrier
	v_lshl_add_u32 v51, v62, 2, v63
	ds_read2_b32 v[34:35], v14 offset0:93 offset1:161
	v_add_u32_e32 v24, 0x400, v50
	v_add_u32_e32 v66, 0x800, v50
	ds_read_b32 v8, v67
	v_add_u32_e32 v68, 0x600, v50
	v_lshl_add_u32 v65, v56, 2, v63
	ds_read_b32 v63, v50 offset:3196
	ds_read_b32 v53, v51
	ds_read_b32 v52, v65
	ds_read2_b32 v[22:23], v24 offset0:101 offset1:186
	ds_read2_b32 v[42:43], v66 offset0:151 offset1:219
	;; [unrolled: 1-line block ×3, first 2 shown]
	v_cmp_lt_u32_e64 s[0:1], 16, v62
	v_cmp_gt_u32_e64 s[2:3], 17, v62
	v_lshlrev_b32_e32 v69, 2, v58
	v_lshlrev_b32_e32 v59, 2, v102
                                        ; implicit-def: $vgpr64
                                        ; implicit-def: $vgpr40
	s_and_saveexec_b64 s[72:73], s[2:3]
	s_cbranch_execz .LBB0_14
; %bb.13:
	v_add_u32_e32 v40, 0x680, v50
	v_add3_u32 v16, 0, v69, v59
	ds_read2_b32 v[40:41], v40 offset0:9 offset1:230
	ds_read_b32 v60, v16
	ds_read_b32 v64, v50 offset:3468
.LBB0_14:
	s_or_b64 exec, exec, s[72:73]
	v_add_f32_e32 v16, v33, v3
	v_add_f32_e32 v7, v7, v16
	v_mov_b32_e32 v72, v32
	v_mov_b32_e32 v73, v11
	;; [unrolled: 1-line block ×4, first 2 shown]
	v_add_f32_e32 v70, v11, v7
	v_pk_add_f32 v[72:73], v[72:73], v[74:75]
	v_mov_b32_e32 v74, v12
	v_mov_b32_e32 v75, v10
	;; [unrolled: 1-line block ×4, first 2 shown]
	v_pk_add_f32 v[10:11], v[74:75], v[10:11] neg_lo:[0,1] neg_hi:[0,1]
	v_mov_b32_e32 v74, v73
	v_mov_b32_e32 v75, v11
	v_pk_mul_f32 v[76:77], v[74:75], s[26:27]
	v_mov_b32_e32 v78, v72
	v_mov_b32_e32 v79, v10
	;; [unrolled: 1-line block ×3, first 2 shown]
	v_pk_mul_f32 v[80:81], v[78:79], s[18:19]
	v_pk_fma_f32 v[74:75], v[74:75], s[26:27], v[6:7]
	v_mov_b32_e32 v7, v80
	v_pk_fma_f32 v[78:79], v[78:79], s[18:19], v[6:7]
	v_mov_b32_e32 v7, v13
	v_mov_b32_e32 v12, v20
	;; [unrolled: 1-line block ×4, first 2 shown]
	v_pk_add_f32 v[6:7], v[6:7], v[12:13] neg_lo:[0,1] neg_hi:[0,1]
	v_pk_add_f32 v[32:33], v[32:33], v[70:71]
	v_mov_b32_e32 v54, v15
	v_mov_b32_e32 v74, v27
	v_mov_b32_e32 v26, v1
	v_mov_b32_e32 v27, v6
	v_pk_add_f32 v[70:71], v[54:55], v[32:33]
	v_pk_mul_f32 v[54:55], v[54:55], v[32:33]
	v_mov_b32_e32 v78, v31
	v_pk_mul_f32 v[30:31], v[26:27], s[22:23]
	v_mov_b32_e32 v71, v55
	v_mul_f32_e32 v13, 0xbeedf032, v7
	v_mov_b32_e32 v15, v30
	v_mov_b32_e32 v12, v9
	s_mov_b32 s26, s22
	v_mov_b32_e32 v16, v17
	v_mov_b32_e32 v17, v3
	v_pk_fma_f32 v[26:27], v[26:27], s[22:23], v[14:15]
	s_mov_b32 s22, s15
	s_mov_b32 s23, s9
	v_pk_add_f32 v[12:13], v[12:13], v[70:71]
	v_sub_f32_e32 v15, v30, v31
	v_pk_mul_f32 v[30:31], v[6:7], s[22:23]
	v_mov_b32_e32 v82, v1
	v_mov_b32_e32 v83, v33
	s_mov_b32 s22, s5
	s_mov_b32 s23, s8
	v_pk_add_f32 v[12:13], v[16:17], v[12:13]
	v_mov_b32_e32 v26, v25
	s_mov_b32 s72, s52
	s_mov_b32 s73, s17
	v_pk_add_f32 v[12:13], v[26:27], v[12:13]
	v_fmac_f32_e32 v55, 0x3eedf032, v7
	v_pk_fma_f32 v[16:17], v[82:83], s[22:23], v[30:31]
	v_pk_fma_f32 v[26:27], v[82:83], s[22:23], v[30:31] neg_lo:[0,0,1] neg_hi:[0,0,1]
	v_sub_f32_e32 v84, v76, v77
	s_mov_b32 s27, s16
	v_pk_mul_f32 v[76:77], v[10:11], s[72:73]
	v_add_f32_e32 v9, v55, v3
	v_add_f32_e32 v17, v17, v3
	;; [unrolled: 1-line block ×3, first 2 shown]
	v_sub_f32_e32 v85, v80, v81
	v_pk_fma_f32 v[80:81], v[72:73], s[26:27], v[76:77]
	v_pk_fma_f32 v[76:77], v[72:73], s[26:27], v[76:77] neg_lo:[0,0,1] neg_hi:[0,0,1]
	v_add_f32_e32 v9, v15, v9
	v_add_f32_e32 v15, v16, v17
	;; [unrolled: 1-line block ×5, first 2 shown]
	v_mov_b32_e32 v16, v39
	v_mov_b32_e32 v17, v48
	v_add_f32_e32 v9, v84, v9
	v_pk_mul_f32 v[30:31], v[16:17], s[16:17]
	v_add_f32_e32 v20, v85, v9
	v_mov_b32_e32 v9, v30
	v_add_f32_e32 v15, v81, v15
	s_waitcnt lgkmcnt(6)
	v_pk_fma_f32 v[54:55], v[16:17], s[16:17], v[8:9]
	v_sub_f32_e32 v9, v30, v31
	v_add_f32_e32 v18, v80, v15
	v_mov_b32_e32 v54, v21
	v_add_f32_e32 v15, v9, v20
	v_pk_mul_f32 v[20:21], v[16:17], s[18:19]
	v_pk_add_f32 v[12:13], v[74:75], v[12:13]
	v_mov_b32_e32 v26, v21
	v_mov_b32_e32 v9, v20
	v_pk_add_f32 v[12:13], v[78:79], v[12:13]
	v_pk_fma_f32 v[30:31], v[16:17], s[18:19], v[26:27]
	v_pk_fma_f32 v[20:21], v[16:17], s[18:19], v[8:9] neg_lo:[1,0,0] neg_hi:[1,0,0]
	v_mov_b32_e32 v16, v45
	v_mov_b32_e32 v17, v46
	v_pk_add_f32 v[12:13], v[54:55], v[12:13]
	v_pk_mul_f32 v[54:55], v[16:17], s[8:9]
	v_mov_b32_e32 v9, v54
	v_pk_fma_f32 v[16:17], v[16:17], s[8:9], v[8:9]
	v_sub_f32_e32 v9, v54, v55
	v_pk_mul_f32 v[54:55], v[6:7], s[62:63] op_sel:[1,0]
	v_pk_mul_f32 v[70:71], v[6:7], s[64:65] op_sel_hi:[0,1]
	v_pk_fma_f32 v[84:85], v[32:33], s[56:57], v[54:55] op_sel:[1,0,0]
	v_pk_fma_f32 v[74:75], v[0:1], s[54:55], v[70:71] op_sel:[1,0,0]
	v_pk_mul_f32 v[76:77], v[10:11], s[68:69] op_sel:[1,0]
	v_pk_add_f32 v[84:85], v[84:85], v[2:3] op_sel:[0,1]
	v_pk_fma_f32 v[54:55], v[32:33], s[56:57], v[54:55] op_sel:[1,0,0] neg_lo:[0,0,1] neg_hi:[0,0,1]
	v_pk_fma_f32 v[78:79], v[72:73], s[58:59], v[76:77] op_sel:[1,0,0]
	v_pk_mul_f32 v[80:81], v[10:11], s[14:15] op_sel_hi:[0,1]
	v_pk_add_f32 v[74:75], v[74:75], v[84:85]
	v_pk_fma_f32 v[70:71], v[0:1], s[54:55], v[70:71] op_sel:[1,0,0] neg_lo:[0,0,1] neg_hi:[0,0,1]
	v_pk_add_f32 v[54:55], v[54:55], v[2:3] op_sel:[0,1]
	v_pk_fma_f32 v[82:83], v[72:73], s[4:5], v[80:81] op_sel_hi:[0,1,1]
	v_pk_add_f32 v[74:75], v[78:79], v[74:75]
	v_pk_mul_f32 v[78:79], v[48:49], s[24:25] op_sel_hi:[0,1]
	v_pk_fma_f32 v[76:77], v[72:73], s[58:59], v[76:77] op_sel:[1,0,0] neg_lo:[0,0,1] neg_hi:[0,0,1]
	v_pk_add_f32 v[54:55], v[70:71], v[54:55]
	v_pk_add_f32 v[74:75], v[82:83], v[74:75]
	v_pk_fma_f32 v[82:83], v[38:39], s[60:61], v[78:79] op_sel:[1,0,0]
	v_pk_fma_f32 v[80:81], v[72:73], s[4:5], v[80:81] op_sel_hi:[0,1,1] neg_lo:[0,0,1] neg_hi:[0,0,1]
	v_pk_add_f32 v[54:55], v[76:77], v[54:55]
	v_pk_add_f32 v[74:75], v[82:83], v[74:75]
	v_pk_mul_f32 v[82:83], v[46:47], s[70:71] op_sel_hi:[0,1]
	v_pk_add_f32 v[54:55], v[80:81], v[54:55]
	v_pk_fma_f32 v[70:71], v[38:39], s[60:61], v[78:79] op_sel:[1,0,0] neg_lo:[0,0,1] neg_hi:[0,0,1]
	v_pk_add_f32 v[54:55], v[70:71], v[54:55]
	v_pk_fma_f32 v[70:71], v[44:45], s[66:67], v[82:83] op_sel:[1,0,0] neg_lo:[0,0,1] neg_hi:[0,0,1]
	v_pk_fma_f32 v[84:85], v[44:45], s[66:67], v[82:83] op_sel:[1,0,0]
	v_pk_add_f32 v[54:55], v[70:71], v[54:55]
	v_pk_mul_f32 v[70:71], v[6:7], s[36:37] op_sel:[1,0]
	v_pk_add_f32 v[74:75], v[84:85], v[74:75]
	v_pk_mul_f32 v[6:7], v[6:7], s[38:39] op_sel_hi:[0,1]
	v_pk_fma_f32 v[84:85], v[32:33], s[44:45], v[70:71] op_sel:[1,0,0]
	v_pk_fma_f32 v[76:77], v[0:1], s[28:29], v[6:7] op_sel:[1,0,0]
	v_pk_mul_f32 v[78:79], v[10:11], s[40:41] op_sel:[1,0]
	v_pk_add_f32 v[84:85], v[84:85], v[2:3] op_sel:[0,1]
	v_pk_fma_f32 v[32:33], v[32:33], s[44:45], v[70:71] op_sel:[1,0,0] neg_lo:[0,0,1] neg_hi:[0,0,1]
	v_pk_fma_f32 v[80:81], v[72:73], s[30:31], v[78:79] op_sel:[1,0,0]
	v_pk_mul_f32 v[10:11], v[10:11], s[42:43] op_sel_hi:[0,1]
	v_pk_add_f32 v[76:77], v[76:77], v[84:85]
	v_pk_fma_f32 v[0:1], v[0:1], s[28:29], v[6:7] op_sel:[1,0,0] neg_lo:[0,0,1] neg_hi:[0,0,1]
	v_pk_add_f32 v[2:3], v[32:33], v[2:3] op_sel:[0,1]
	v_pk_fma_f32 v[82:83], v[72:73], s[34:35], v[10:11] op_sel_hi:[0,1,1]
	v_pk_add_f32 v[76:77], v[80:81], v[76:77]
	v_pk_mul_f32 v[48:49], v[48:49], s[50:51] op_sel_hi:[0,1]
	v_pk_fma_f32 v[6:7], v[72:73], s[30:31], v[78:79] op_sel:[1,0,0] neg_lo:[0,0,1] neg_hi:[0,0,1]
	v_pk_add_f32 v[0:1], v[0:1], v[2:3]
	v_pk_add_f32 v[76:77], v[82:83], v[76:77]
	v_pk_fma_f32 v[80:81], v[38:39], s[46:47], v[48:49] op_sel:[1,0,0]
	v_pk_fma_f32 v[10:11], v[72:73], s[34:35], v[10:11] op_sel_hi:[0,1,1] neg_lo:[0,0,1] neg_hi:[0,0,1]
	v_pk_add_f32 v[0:1], v[6:7], v[0:1]
	v_mul_f32_e32 v26, 0x3df6dbef, v45
	v_mul_f32_e32 v20, 0x3f7e222b, v46
	v_mov_b32_e32 v16, v19
	v_pk_add_f32 v[76:77], v[80:81], v[76:77]
	v_pk_mul_f32 v[80:81], v[46:47], s[52:53] op_sel_hi:[0,1]
	v_pk_add_f32 v[0:1], v[10:11], v[0:1]
	v_pk_fma_f32 v[2:3], v[38:39], s[46:47], v[48:49] op_sel:[1,0,0] neg_lo:[0,0,1] neg_hi:[0,0,1]
	v_mov_b32_e32 v19, v26
	v_mov_b32_e32 v6, v30
	;; [unrolled: 1-line block ×3, first 2 shown]
	v_pk_add_f32 v[0:1], v[2:3], v[0:1]
	v_pk_fma_f32 v[2:3], v[44:45], s[48:49], v[80:81] op_sel:[1,0,0] neg_lo:[0,0,1] neg_hi:[0,0,1]
	v_pk_add_f32 v[10:11], v[18:19], v[30:31]
	v_pk_add_f32 v[6:7], v[18:19], v[6:7] neg_lo:[0,1] neg_hi:[0,1]
	v_pk_add_f32 v[12:13], v[16:17], v[12:13]
	v_pk_fma_f32 v[82:83], v[44:45], s[48:49], v[80:81] op_sel:[1,0,0]
	v_pk_add_f32 v[0:1], v[2:3], v[0:1]
	v_pk_add_f32 v[2:3], v[26:27], v[20:21]
	v_mov_b32_e32 v11, v7
	v_add_f32_e32 v16, v9, v15
	v_pk_add_f32 v[76:77], v[82:83], v[76:77]
	v_pk_add_f32 v[2:3], v[2:3], v[10:11]
	s_waitcnt lgkmcnt(0)
	s_barrier
	ds_write2_b32 v61, v12, v13 offset1:1
	ds_write2_b32 v61, v74, v75 offset0:2 offset1:3
	ds_write2_b32 v61, v76, v77 offset0:4 offset1:5
	ds_write2_b32 v61, v2, v3 offset0:6 offset1:7
	ds_write2_b32 v61, v1, v0 offset0:8 offset1:9
	ds_write2_b32 v61, v55, v54 offset0:10 offset1:11
	ds_write_b32 v61, v16 offset:48
	s_waitcnt lgkmcnt(0)
	s_barrier
	ds_read2_b32 v[30:31], v14 offset0:93 offset1:161
	ds_read2_b32 v[6:7], v24 offset0:101 offset1:186
	;; [unrolled: 1-line block ×3, first 2 shown]
	ds_read_b32 v19, v67
	ds_read2_b32 v[20:21], v68 offset0:126 offset1:194
	ds_read_b32 v10, v50 offset:3196
	ds_read_b32 v54, v51
	ds_read_b32 v24, v65
                                        ; implicit-def: $vgpr32
                                        ; implicit-def: $vgpr13
	s_and_saveexec_b64 s[4:5], s[2:3]
	s_cbranch_execz .LBB0_16
; %bb.15:
	v_add_u32_e32 v1, 0x680, v50
	v_add3_u32 v0, 0, v69, v59
	ds_read2_b32 v[32:33], v1 offset0:9 offset1:230
	ds_read_b32 v16, v0
	ds_read_b32 v13, v50 offset:3468
.LBB0_16:
	s_or_b64 exec, exec, s[4:5]
	s_movk_i32 s2, 0x4f
	v_mul_lo_u16_sdwa v0, v62, s2 dst_sel:DWORD dst_unused:UNUSED_PAD src0_sel:BYTE_0 src1_sel:DWORD
	v_lshrrev_b16_e32 v82, 10, v0
	v_mul_lo_u16_e32 v0, 13, v82
	v_sub_u16_e32 v83, v62, v0
	v_mov_b32_e32 v9, 3
	v_mul_u32_u24_sdwa v0, v83, v9 dst_sel:DWORD dst_unused:UNUSED_PAD src0_sel:BYTE_0 src1_sel:DWORD
	v_lshlrev_b32_e32 v11, 3, v0
	global_load_dwordx2 v[38:39], v11, s[12:13] offset:16
	global_load_dwordx4 v[0:3], v11, s[12:13]
	v_mul_lo_u16_sdwa v11, v57, s2 dst_sel:DWORD dst_unused:UNUSED_PAD src0_sel:BYTE_0 src1_sel:DWORD
	v_lshrrev_b16_e32 v84, 10, v11
	v_mul_lo_u16_e32 v11, 13, v84
	v_sub_u16_e32 v85, v57, v11
	v_mul_u32_u24_sdwa v11, v85, v9 dst_sel:DWORD dst_unused:UNUSED_PAD src0_sel:BYTE_0 src1_sel:DWORD
	v_lshlrev_b32_e32 v11, 3, v11
	global_load_dwordx2 v[48:49], v11, s[12:13] offset:16
	global_load_dwordx4 v[44:47], v11, s[12:13]
	v_mul_lo_u16_sdwa v11, v56, s2 dst_sel:DWORD dst_unused:UNUSED_PAD src0_sel:BYTE_0 src1_sel:DWORD
	v_lshrrev_b16_e32 v86, 10, v11
	v_mul_lo_u16_e32 v11, 13, v86
	v_sub_u16_e32 v87, v56, v11
	v_mul_u32_u24_sdwa v9, v87, v9 dst_sel:DWORD dst_unused:UNUSED_PAD src0_sel:BYTE_0 src1_sel:DWORD
	v_lshlrev_b32_e32 v9, 3, v9
	s_movk_i32 s2, 0x4ec5
	global_load_dwordx2 v[56:57], v9, s[12:13] offset:16
	global_load_dwordx4 v[66:69], v9, s[12:13]
	v_mul_u32_u24_sdwa v9, v58, s2 dst_sel:DWORD dst_unused:UNUSED_PAD src0_sel:WORD_0 src1_sel:DWORD
	v_lshrrev_b32_e32 v9, 18, v9
	v_mul_lo_u16_e32 v9, 13, v9
	v_sub_u16_e32 v55, v58, v9
	v_mul_u32_u24_e32 v9, 3, v55
	v_lshlrev_b32_e32 v9, 3, v9
	global_load_dwordx4 v[70:73], v9, s[12:13]
	global_load_dwordx2 v[74:75], v9, s[12:13] offset:16
	s_waitcnt lgkmcnt(4)
	v_add_f32_e32 v65, v19, v19
	s_movk_i32 s2, 0xd0
	s_waitcnt lgkmcnt(0)
	s_barrier
	s_waitcnt vmcnt(7)
	v_mul_f32_e32 v88, v26, v39
	s_waitcnt vmcnt(6)
	v_mul_f32_e32 v15, v30, v1
	v_mul_f32_e32 v12, v34, v1
	;; [unrolled: 1-line block ×4, first 2 shown]
	v_fma_f32 v34, v34, v0, -v15
	v_fmac_f32_e32 v12, v30, v0
	s_waitcnt vmcnt(5)
	v_mul_f32_e32 v18, v43, v48
	s_waitcnt vmcnt(4)
	v_mul_f32_e32 v77, v36, v47
	v_mul_f32_e32 v89, v31, v45
	;; [unrolled: 1-line block ×5, first 2 shown]
	v_fma_f32 v0, v23, v2, -v61
	v_fma_f32 v15, v42, v38, -v88
	v_fmac_f32_e32 v77, v20, v46
	v_mul_f32_e32 v39, v43, v49
	s_waitcnt vmcnt(2)
	v_mul_f32_e32 v49, v6, v67
	v_mul_f32_e32 v78, v37, v69
	;; [unrolled: 1-line block ×4, first 2 shown]
	v_fmac_f32_e32 v14, v26, v38
	s_waitcnt vmcnt(1)
	v_mul_f32_e32 v63, v33, v73
	s_waitcnt vmcnt(0)
	v_mul_f32_e32 v47, v64, v75
	v_mul_f32_e32 v17, v64, v74
	;; [unrolled: 1-line block ×3, first 2 shown]
	v_fma_f32 v64, v35, v44, -v89
	v_fma_f32 v26, v36, v46, -v45
	v_fmac_f32_e32 v47, v13, v74
	v_sub_f32_e32 v15, v34, v15
	v_add_f32_e32 v13, v34, v34
	v_sub_f32_e32 v30, v53, v0
	v_pk_add_f32 v[18:19], v[18:19], v[76:77] neg_lo:[0,1] neg_hi:[0,1]
	v_mul_f32_e32 v9, v22, v67
	v_mul_f32_e32 v67, v21, v69
	;; [unrolled: 1-line block ×3, first 2 shown]
	v_fmac_f32_e32 v11, v31, v44
	v_fmac_f32_e32 v39, v27, v48
	v_fma_f32 v45, v22, v66, -v49
	v_fmac_f32_e32 v78, v21, v68
	v_fma_f32 v22, v41, v72, -v63
	v_sub_f32_e32 v41, v8, v26
	v_fma_f32 v31, v53, 2.0, -v30
	v_pk_add_f32 v[26:27], v[12:13], v[14:15] neg_lo:[0,1] neg_hi:[0,1]
	v_pk_add_f32 v[20:21], v[64:65], v[18:19] neg_lo:[0,1] neg_hi:[0,1]
	v_mul_f32_e32 v79, v10, v57
	v_mul_f32_e32 v57, v32, v71
	;; [unrolled: 1-line block ×3, first 2 shown]
	v_fmac_f32_e32 v43, v10, v56
	v_add_f32_e32 v10, v64, v64
	v_pk_add_f32 v[34:35], v[30:31], v[26:27] neg_lo:[0,1] neg_hi:[0,1]
	v_mov_b32_e32 v38, v20
	v_fmac_f32_e32 v9, v6, v66
	v_fma_f32 v6, v37, v68, -v67
	v_fma_f32 v37, v40, v70, -v57
	v_fmac_f32_e32 v1, v32, v70
	v_fmac_f32_e32 v80, v33, v72
	v_pk_fma_f32 v[32:33], v[30:31], 2.0, v[34:35] op_sel_hi:[1,0,1] neg_lo:[0,0,1] neg_hi:[0,0,1]
	v_fma_f32 v40, v8, 2.0, -v41
	v_pk_add_f32 v[38:39], v[10:11], v[38:39] neg_lo:[0,1] neg_hi:[0,1]
	v_add_f32_e32 v44, v24, v24
	v_pk_add_f32 v[30:31], v[24:25], v[78:79] neg_lo:[0,1] neg_hi:[0,1]
	v_pk_add_f32 v[48:49], v[40:41], v[38:39] neg_lo:[0,1] neg_hi:[0,1]
	;; [unrolled: 1-line block ×3, first 2 shown]
	v_pk_fma_f32 v[56:57], v[40:41], 2.0, v[48:49] op_sel_hi:[1,0,1] neg_lo:[0,0,1] neg_hi:[0,0,1]
	v_add_f32_e32 v8, v45, v45
	v_sub_f32_e32 v41, v52, v6
	v_mov_b32_e32 v42, v25
	v_fma_f32 v40, v52, 2.0, -v41
	v_pk_add_f32 v[42:43], v[8:9], v[42:43] neg_lo:[0,1] neg_hi:[0,1]
	v_pk_add_f32 v[52:53], v[40:41], v[42:43] neg_lo:[0,1] neg_hi:[0,1]
	v_add_f32_e32 v36, v16, v16
	v_pk_add_f32 v[16:17], v[16:17], v[80:81] neg_lo:[0,1] neg_hi:[0,1]
	v_pk_fma_f32 v[44:45], v[40:41], 2.0, v[52:53] op_sel_hi:[1,0,1] neg_lo:[0,0,1] neg_hi:[0,0,1]
	v_pk_add_f32 v[40:41], v[36:37], v[16:17] neg_lo:[0,1] neg_hi:[0,1]
	v_add_f32_e32 v0, v37, v37
	v_mov_b32_e32 v46, v41
	v_mov_b32_e32 v6, 2
	v_sub_f32_e32 v61, v60, v22
	v_pk_add_f32 v[46:47], v[0:1], v[46:47] neg_lo:[0,1] neg_hi:[0,1]
	v_mad_u32_u24 v0, v82, s2, 0
	v_lshlrev_b32_sdwa v8, v6, v83 dst_sel:DWORD dst_unused:UNUSED_PAD src0_sel:DWORD src1_sel:BYTE_0
	v_fma_f32 v60, v60, 2.0, -v61
	v_add3_u32 v0, v0, v8, v59
	v_mad_u32_u24 v8, v84, s2, 0
	v_lshlrev_b32_sdwa v10, v6, v85 dst_sel:DWORD dst_unused:UNUSED_PAD src0_sel:DWORD src1_sel:BYTE_0
	v_pk_add_f32 v[36:37], v[60:61], v[46:47] neg_lo:[0,1] neg_hi:[0,1]
	v_add3_u32 v8, v8, v10, v59
	v_mad_u32_u24 v10, v86, s2, 0
	v_lshlrev_b32_sdwa v6, v6, v87 dst_sel:DWORD dst_unused:UNUSED_PAD src0_sel:DWORD src1_sel:BYTE_0
	v_pk_fma_f32 v[64:65], v[60:61], 2.0, v[36:37] op_sel_hi:[1,0,1] neg_lo:[0,0,1] neg_hi:[0,0,1]
	v_add3_u32 v10, v10, v6, v59
	ds_write2_b32 v0, v33, v32 offset1:13
	ds_write2_b32 v0, v35, v34 offset0:26 offset1:39
	ds_write2_b32 v8, v56, v57 offset1:13
	ds_write2_b32 v8, v48, v49 offset0:26 offset1:39
	;; [unrolled: 2-line block ×3, first 2 shown]
	s_and_saveexec_b64 s[2:3], s[0:1]
	s_xor_b64 s[2:3], exec, s[2:3]
	s_or_saveexec_b64 s[2:3], s[2:3]
	v_lshlrev_b32_e32 v6, 2, v55
	s_xor_b64 exec, exec, s[2:3]
	s_cbranch_execz .LBB0_18
; %bb.17:
	s_movk_i32 s4, 0x4f
	v_mul_lo_u16_sdwa v13, v58, s4 dst_sel:DWORD dst_unused:UNUSED_PAD src0_sel:BYTE_0 src1_sel:DWORD
	v_lshrrev_b16_e32 v13, 10, v13
	s_movk_i32 s4, 0xd0
	v_mad_u32_u24 v13, v13, s4, 0
	v_add3_u32 v13, v13, v6, v59
	ds_write2_b32 v13, v64, v65 offset1:13
	ds_write2_b32 v13, v36, v37 offset0:26 offset1:39
.LBB0_18:
	s_or_b64 exec, exec, s[2:3]
	v_cmp_gt_u32_e64 s[2:3], 52, v62
	v_cmp_lt_u32_e64 s[4:5], 51, v62
	s_waitcnt lgkmcnt(0)
	s_barrier
	s_and_saveexec_b64 s[8:9], s[4:5]
	s_xor_b64 s[8:9], exec, s[8:9]
	s_or_saveexec_b64 s[8:9], s[8:9]
                                        ; implicit-def: $vgpr69
	s_xor_b64 exec, exec, s[8:9]
	s_cbranch_execz .LBB0_20
; %bb.19:
	v_add_u32_e32 v13, 0x400, v50
	ds_read_b32 v33, v51
	ds_read2_b32 v[34:35], v50 offset0:52 offset1:104
	ds_read2_b32 v[36:37], v50 offset0:156 offset1:208
	ds_read2_b32 v[48:49], v13 offset0:4 offset1:56
	ds_read2_b32 v[52:53], v13 offset0:108 offset1:160
	v_add_u32_e32 v13, 0x600, v50
	ds_read2_b32 v[60:61], v13 offset0:84 offset1:136
	v_add_u32_e32 v13, 0x800, v50
	ds_read2_b32 v[66:67], v13 offset0:60 offset1:112
	ds_read2_b32 v[70:71], v13 offset0:164 offset1:216
	v_add_u32_e32 v13, 0xc00, v50
	ds_read2_b32 v[68:69], v13 offset0:12 offset1:64
	s_waitcnt lgkmcnt(7)
	v_mov_b32_e32 v32, v34
	s_waitcnt lgkmcnt(6)
	v_mov_b32_e32 v56, v37
	s_waitcnt lgkmcnt(5)
	v_mov_b32_e32 v57, v48
	s_waitcnt lgkmcnt(4)
	v_mov_b32_e32 v44, v53
	s_waitcnt lgkmcnt(3)
	v_mov_b32_e32 v45, v60
	s_waitcnt lgkmcnt(2)
	v_mov_b32_e32 v64, v67
	s_waitcnt lgkmcnt(1)
	v_mov_b32_e32 v65, v70
	v_mov_b32_e32 v34, v36
	v_mov_b32_e32 v48, v49
	v_mov_b32_e32 v49, v52
	v_mov_b32_e32 v52, v61
	v_mov_b32_e32 v36, v71
	s_waitcnt lgkmcnt(0)
	v_mov_b32_e32 v37, v68
	v_mov_b32_e32 v53, v66
.LBB0_20:
	s_or_b64 exec, exec, s[8:9]
	v_mul_f32_e32 v3, v23, v3
	v_fmac_f32_e32 v3, v7, v2
	v_sub_f32_e32 v2, v54, v3
	v_fma_f32 v3, v54, 2.0, -v2
	v_fma_f32 v7, v12, 2.0, -v26
	v_add_f32_e32 v70, v2, v15
	v_sub_f32_e32 v77, v3, v7
	v_fma_f32 v31, v3, 2.0, -v77
	v_fma_f32 v76, v2, 2.0, -v70
	v_mov_b32_e32 v2, v19
	v_fma_f32 v3, v11, 2.0, -v39
	v_pk_add_f32 v[82:83], v[20:21], v[2:3]
	v_pk_add_f32 v[86:87], v[20:21], v[2:3] neg_lo:[0,1] neg_hi:[0,1]
	v_mov_b32_e32 v3, v30
	v_fma_f32 v2, v9, 2.0, -v43
	v_pk_add_f32 v[90:91], v[24:25], v[2:3] neg_lo:[0,1] neg_hi:[0,1]
	v_pk_add_f32 v[92:93], v[24:25], v[2:3]
	v_fma_f32 v2, v1, 2.0, -v47
	v_mov_b32_e32 v3, v16
	v_mov_b32_e32 v12, v19
	;; [unrolled: 1-line block ×4, first 2 shown]
	v_pk_add_f32 v[72:73], v[40:41], v[2:3] neg_lo:[0,1] neg_hi:[0,1]
	v_pk_add_f32 v[80:81], v[40:41], v[2:3]
	v_pk_fma_f32 v[94:95], v[12:13], 2.0, v[82:83] op_sel_hi:[1,0,1] neg_lo:[0,0,1] neg_hi:[0,0,1]
	v_mov_b32_e32 v12, v24
	v_mov_b32_e32 v13, v30
	;; [unrolled: 1-line block ×5, first 2 shown]
	v_pk_fma_f32 v[88:89], v[12:13], 2.0, v[90:91] op_sel_hi:[1,0,1] neg_lo:[0,0,1] neg_hi:[0,0,1]
	v_pk_fma_f32 v[98:99], v[40:41], 2.0, v[72:73] op_sel_hi:[1,0,1] neg_lo:[0,0,1] neg_hi:[0,0,1]
	s_barrier
	ds_write2_b32 v0, v31, v76 offset1:13
	ds_write2_b32 v0, v77, v70 offset0:26 offset1:39
	ds_write2_b32 v8, v95, v94 offset1:13
	ds_write2_b32 v8, v87, v82 offset0:26 offset1:39
	ds_write2_b32 v10, v88, v89 offset1:13
	ds_write2_b32 v10, v90, v93 offset0:26 offset1:39
	s_and_saveexec_b64 s[8:9], s[0:1]
	s_xor_b64 s[0:1], exec, s[8:9]
; %bb.21:
                                        ; implicit-def: $vgpr58
                                        ; implicit-def: $vgpr6
                                        ; implicit-def: $vgpr59
; %bb.22:
	s_andn2_saveexec_b64 s[0:1], s[0:1]
	s_cbranch_execz .LBB0_24
; %bb.23:
	s_movk_i32 s8, 0x4f
	v_mul_lo_u16_sdwa v0, v58, s8 dst_sel:DWORD dst_unused:UNUSED_PAD src0_sel:BYTE_0 src1_sel:DWORD
	v_lshrrev_b16_e32 v0, 10, v0
	s_movk_i32 s8, 0xd0
	v_mad_u32_u24 v0, v0, s8, 0
	v_add3_u32 v0, v0, v6, v59
	ds_write2_b32 v0, v98, v99 offset1:13
	ds_write2_b32 v0, v72, v81 offset0:26 offset1:39
.LBB0_24:
	s_or_b64 exec, exec, s[0:1]
	s_waitcnt lgkmcnt(0)
	s_barrier
	s_and_saveexec_b64 s[0:1], s[4:5]
	s_xor_b64 s[0:1], exec, s[0:1]
; %bb.25:
                                        ; implicit-def: $vgpr51
                                        ; implicit-def: $vgpr50
; %bb.26:
	s_or_saveexec_b64 s[0:1], s[0:1]
                                        ; implicit-def: $vgpr101
	s_xor_b64 exec, exec, s[0:1]
	s_cbranch_execz .LBB0_28
; %bb.27:
	v_add_u32_e32 v0, 0x400, v50
	ds_read_b32 v31, v51
	ds_read2_b32 v[76:77], v50 offset0:52 offset1:104
	ds_read2_b32 v[70:71], v50 offset0:156 offset1:208
	ds_read2_b32 v[86:87], v0 offset0:4 offset1:56
	ds_read2_b32 v[82:83], v0 offset0:108 offset1:160
	v_add_u32_e32 v0, 0x600, v50
	v_add_u32_e32 v6, 0x800, v50
	;; [unrolled: 1-line block ×3, first 2 shown]
	ds_read2_b32 v[0:1], v0 offset0:84 offset1:136
	ds_read2_b32 v[2:3], v6 offset0:60 offset1:112
	;; [unrolled: 1-line block ×4, first 2 shown]
	s_waitcnt lgkmcnt(4)
	v_mov_b32_e32 v88, v83
	v_mov_b32_e32 v94, v86
	s_waitcnt lgkmcnt(3)
	v_mov_b32_e32 v89, v0
	s_waitcnt lgkmcnt(2)
	;; [unrolled: 2-line block ×3, first 2 shown]
	v_mov_b32_e32 v99, v6
	v_mov_b32_e32 v95, v71
	;; [unrolled: 1-line block ×4, first 2 shown]
	s_waitcnt lgkmcnt(0)
	v_mov_b32_e32 v81, v100
	v_mov_b32_e32 v93, v2
.LBB0_28:
	s_or_b64 exec, exec, s[0:1]
	v_cmp_gt_u32_e64 s[0:1], 52, v62
	s_and_b64 s[0:1], vcc, s[0:1]
	s_and_saveexec_b64 s[4:5], s[0:1]
	s_cbranch_execz .LBB0_30
; %bb.29:
	v_mul_lo_u32 v0, s7, v4
	v_mul_lo_u32 v1, s6, v5
	v_mad_u64_u32 v[38:39], s[0:1], s6, v4, 0
	v_add3_u32 v39, v39, v1, v0
	v_lshlrev_b32_e32 v0, 4, v62
	v_add_u32_e32 v1, 0xfffffcc0, v0
	v_cndmask_b32_e64 v0, v1, v0, s[2:3]
	v_mov_b32_e32 v1, 0
	v_lshlrev_b64 v[0:1], 3, v[0:1]
	v_mov_b32_e32 v2, s13
	v_add_co_u32_e32 v40, vcc, s12, v0
	v_addc_co_u32_e32 v41, vcc, v2, v1, vcc
	global_load_dwordx4 v[0:3], v[40:41], off offset:424
	global_load_dwordx4 v[24:27], v[40:41], off offset:408
	;; [unrolled: 1-line block ×8, first 2 shown]
	v_mad_u64_u32 v[40:41], s[0:1], s20, v62, 0
	v_mov_b32_e32 v30, v41
	v_lshlrev_b64 v[38:39], 3, v[38:39]
	v_mad_u64_u32 v[42:43], s[0:1], s21, v62, v[30:31]
	v_mov_b32_e32 v30, s11
	v_add_co_u32_e32 v38, vcc, s10, v38
	v_addc_co_u32_e32 v30, vcc, v30, v39, vcc
	v_lshlrev_b64 v[28:29], 3, v[28:29]
	v_mov_b32_e32 v41, v42
	v_add_co_u32_e32 v68, vcc, v38, v28
	v_addc_co_u32_e32 v71, vcc, v30, v29, vcc
	v_lshlrev_b64 v[28:29], 3, v[40:41]
	v_add_co_u32_e32 v104, vcc, v68, v28
	v_add_u32_e32 v38, 52, v62
	v_addc_co_u32_e32 v105, vcc, v71, v29, vcc
	v_mad_u64_u32 v[28:29], s[0:1], s20, v38, 0
	v_mov_b32_e32 v30, v29
	v_mad_u64_u32 v[38:39], s[0:1], s21, v38, v[30:31]
	v_mov_b32_e32 v29, v38
	v_lshlrev_b64 v[28:29], 3, v[28:29]
	v_add_co_u32_e32 v102, vcc, v68, v28
	v_add_u32_e32 v38, 0x68, v62
	v_addc_co_u32_e32 v103, vcc, v71, v29, vcc
	v_mad_u64_u32 v[28:29], s[0:1], s20, v38, 0
	v_mov_b32_e32 v30, v29
	v_mad_u64_u32 v[38:39], s[0:1], s21, v38, v[30:31]
	v_mov_b32_e32 v29, v38
	;; [unrolled: 8-line block ×7, first 2 shown]
	v_lshlrev_b64 v[28:29], 3, v[28:29]
	v_add_co_u32_e32 v58, vcc, v68, v28
	v_add_u32_e32 v38, 0x1a0, v62
	v_addc_co_u32_e32 v59, vcc, v71, v29, vcc
	v_mad_u64_u32 v[28:29], s[0:1], s20, v38, 0
	v_mov_b32_e32 v30, v29
	v_mad_u64_u32 v[38:39], s[0:1], s21, v38, v[30:31]
	v_add_u32_e32 v40, 0x1d4, v62
	v_mov_b32_e32 v29, v38
	v_mad_u64_u32 v[38:39], s[0:1], s20, v40, 0
	v_mov_b32_e32 v30, v39
	v_mad_u64_u32 v[40:41], s[0:1], s21, v40, v[30:31]
	v_add_u32_e32 v42, 0x208, v62
	v_mov_b32_e32 v39, v40
	;; [unrolled: 5-line block ×3, first 2 shown]
	v_mad_u64_u32 v[42:43], s[0:1], s20, v46, 0
	v_mov_b32_e32 v30, v43
	v_lshlrev_b64 v[28:29], 3, v[28:29]
	v_mad_u64_u32 v[46:47], s[0:1], s21, v46, v[30:31]
	v_add_u32_e32 v50, 0x270, v62
	v_add_co_u32_e32 v28, vcc, v68, v28
	v_mov_b32_e32 v43, v46
	v_mad_u64_u32 v[46:47], s[0:1], s20, v50, 0
	v_addc_co_u32_e32 v29, vcc, v71, v29, vcc
	v_lshlrev_b64 v[38:39], 3, v[38:39]
	v_mov_b32_e32 v30, v47
	v_add_co_u32_e32 v38, vcc, v68, v38
	v_mad_u64_u32 v[50:51], s[0:1], s21, v50, v[30:31]
	v_add_u32_e32 v54, 0x2a4, v62
	v_addc_co_u32_e32 v39, vcc, v71, v39, vcc
	v_lshlrev_b64 v[40:41], 3, v[40:41]
	v_mov_b32_e32 v47, v50
	v_mad_u64_u32 v[50:51], s[0:1], s20, v54, 0
	v_add_co_u32_e32 v40, vcc, v68, v40
	v_mov_b32_e32 v30, v51
	v_addc_co_u32_e32 v41, vcc, v71, v41, vcc
	v_lshlrev_b64 v[42:43], 3, v[42:43]
	v_mad_u64_u32 v[54:55], s[0:1], s21, v54, v[30:31]
	v_add_u32_e32 v60, 0x2d8, v62
	v_add_co_u32_e32 v42, vcc, v68, v42
	v_mov_b32_e32 v51, v54
	v_mad_u64_u32 v[54:55], s[0:1], s20, v60, 0
	v_addc_co_u32_e32 v43, vcc, v71, v43, vcc
	v_lshlrev_b64 v[46:47], 3, v[46:47]
	v_mov_b32_e32 v30, v55
	v_add_co_u32_e32 v46, vcc, v68, v46
	v_mad_u64_u32 v[60:61], s[0:1], s21, v60, v[30:31]
	v_add_u32_e32 v63, 0x30c, v62
	v_addc_co_u32_e32 v47, vcc, v71, v47, vcc
	v_lshlrev_b64 v[50:51], 3, v[50:51]
	v_mov_b32_e32 v55, v60
	v_mad_u64_u32 v[60:61], s[0:1], s20, v63, 0
	v_add_co_u32_e32 v50, vcc, v68, v50
	v_mov_b32_e32 v30, v61
	v_or_b32_e32 v73, 0x340, v62
	v_addc_co_u32_e32 v51, vcc, v71, v51, vcc
	v_lshlrev_b64 v[54:55], 3, v[54:55]
	v_mad_u64_u32 v[110:111], s[0:1], s21, v63, v[30:31]
	v_mad_u64_u32 v[62:63], s[0:1], s20, v73, 0
	v_add_co_u32_e32 v54, vcc, v68, v54
	v_mov_b32_e32 v61, v110
	v_mov_b32_e32 v30, v63
	v_addc_co_u32_e32 v55, vcc, v71, v55, vcc
	v_lshlrev_b64 v[60:61], 3, v[60:61]
	v_mad_u64_u32 v[110:111], s[0:1], s21, v73, v[30:31]
	v_add_co_u32_e32 v60, vcc, v68, v60
	v_mov_b32_e32 v63, v110
	v_addc_co_u32_e32 v61, vcc, v71, v61, vcc
	v_lshlrev_b64 v[62:63], 3, v[62:63]
	v_add_co_u32_e32 v62, vcc, v68, v62
	v_addc_co_u32_e32 v63, vcc, v71, v63, vcc
	s_waitcnt vmcnt(1)
	v_pk_mul_f32 v[70:71], v[70:71], v[106:107] op_sel_hi:[0,1]
	v_pk_fma_f32 v[110:111], v[34:35], v[106:107], v[70:71] op_sel:[0,0,1] op_sel_hi:[1,1,0] neg_lo:[0,0,1] neg_hi:[0,0,1]
	v_pk_fma_f32 v[70:71], v[34:35], v[106:107], v[70:71] op_sel:[0,0,1] op_sel_hi:[0,1,0]
	v_mov_b32_e32 v111, v71
	v_pk_mul_f32 v[70:71], v[72:73], v[26:27] op_sel_hi:[0,1]
	v_pk_mul_f32 v[72:73], v[94:95], v[108:109] op_sel:[1,0]
	v_pk_mul_f32 v[94:95], v[94:95], v[20:21] op_sel_hi:[0,1]
	v_pk_fma_f32 v[112:113], v[56:57], v[108:109], v[72:73] op_sel:[0,0,1] op_sel_hi:[1,1,0] neg_lo:[0,0,1] neg_hi:[0,0,1]
	v_pk_fma_f32 v[72:73], v[56:57], v[108:109], v[72:73] op_sel:[0,0,1] op_sel_hi:[0,1,0]
	v_pk_fma_f32 v[114:115], v[56:57], v[20:21], v[94:95] op_sel:[1,0,1] op_sel_hi:[1,1,0] neg_lo:[0,0,1] neg_hi:[0,0,1]
	v_pk_fma_f32 v[20:21], v[56:57], v[20:21], v[94:95] op_sel:[1,0,1] op_sel_hi:[1,1,0]
	v_mov_b32_e32 v113, v73
	v_pk_mul_f32 v[72:73], v[98:99], v[24:25] op_sel:[1,0]
	v_mov_b32_e32 v115, v21
	v_pk_mul_f32 v[20:21], v[98:99], v[18:19] op_sel_hi:[0,1]
	v_mov_b32_e32 v30, v87
	v_pk_fma_f32 v[108:109], v[64:65], v[24:25], v[72:73] op_sel:[1,0,1] op_sel_hi:[1,1,0] neg_lo:[0,0,1] neg_hi:[0,0,1]
	v_pk_fma_f32 v[24:25], v[64:65], v[24:25], v[72:73] op_sel:[1,0,1] op_sel_hi:[1,1,0]
	v_pk_fma_f32 v[56:57], v[64:65], v[18:19], v[20:21] op_sel:[0,0,1] op_sel_hi:[1,1,0] neg_lo:[0,0,1] neg_hi:[0,0,1]
	v_pk_fma_f32 v[18:19], v[64:65], v[18:19], v[20:21] op_sel:[0,0,1] op_sel_hi:[0,1,0]
	v_pk_mul_f32 v[64:65], v[30:31], v[22:23] op_sel_hi:[0,1]
	v_pk_fma_f32 v[86:87], v[48:49], v[22:23], v[64:65] op_sel:[0,0,1] op_sel_hi:[1,1,0] neg_lo:[0,0,1] neg_hi:[0,0,1]
	v_pk_fma_f32 v[22:23], v[48:49], v[22:23], v[64:65] op_sel:[0,0,1] op_sel_hi:[0,1,0]
	v_mov_b32_e32 v34, v93
	v_mov_b32_e32 v22, v53
	;; [unrolled: 1-line block ×3, first 2 shown]
	v_pk_mul_f32 v[64:65], v[34:35], v[16:17] op_sel_hi:[0,1]
	v_pk_fma_f32 v[92:93], v[22:23], v[16:17], v[64:65] op_sel:[0,0,1] op_sel_hi:[1,1,0] neg_lo:[0,0,1] neg_hi:[0,0,1]
	v_pk_fma_f32 v[16:17], v[30:31], v[16:17], v[64:65] op_sel:[0,0,1] op_sel_hi:[0,1,0]
	v_mov_b32_e32 v30, v49
	v_mov_b32_e32 v34, v49
	v_pk_mul_f32 v[48:49], v[82:83], v[12:13] op_sel_hi:[0,1]
	v_pk_fma_f32 v[64:65], v[30:31], v[12:13], v[48:49] op_sel:[0,0,1] op_sel_hi:[1,1,0] neg_lo:[0,0,1] neg_hi:[0,0,1]
	v_pk_fma_f32 v[12:13], v[34:35], v[12:13], v[48:49] op_sel:[0,0,1] op_sel_hi:[0,1,0]
	v_mov_b32_e32 v65, v13
	v_pk_mul_f32 v[12:13], v[90:91], v[10:11] op_sel_hi:[0,1]
	s_waitcnt vmcnt(0)
	v_pk_mul_f32 v[118:119], v[76:77], v[4:5] op_sel_hi:[0,1]
	v_pk_fma_f32 v[106:107], v[36:37], v[26:27], v[70:71] op_sel:[0,0,1] op_sel_hi:[1,1,0] neg_lo:[0,0,1] neg_hi:[0,0,1]
	v_pk_fma_f32 v[26:27], v[36:37], v[26:27], v[70:71] op_sel:[0,0,1] op_sel_hi:[0,1,0]
	v_pk_fma_f32 v[48:49], v[52:53], v[10:11], v[12:13] op_sel:[0,0,1] op_sel_hi:[1,1,0] neg_lo:[0,0,1] neg_hi:[0,0,1]
	v_pk_fma_f32 v[10:11], v[52:53], v[10:11], v[12:13] op_sel:[0,0,1] op_sel_hi:[0,1,0]
	v_pk_mul_f32 v[52:53], v[88:89], v[14:15] op_sel_hi:[0,1]
	v_pk_fma_f32 v[120:121], v[32:33], v[4:5], v[118:119] op_sel:[0,0,1] op_sel_hi:[1,1,0] neg_lo:[0,0,1] neg_hi:[0,0,1]
	v_pk_fma_f32 v[4:5], v[32:33], v[4:5], v[118:119] op_sel:[0,0,1] op_sel_hi:[0,1,0]
	v_mov_b32_e32 v32, v77
	v_mov_b32_e32 v107, v27
	v_pk_fma_f32 v[82:83], v[44:45], v[14:15], v[52:53] op_sel:[0,0,1] op_sel_hi:[1,1,0] neg_lo:[0,0,1] neg_hi:[0,0,1]
	v_pk_fma_f32 v[14:15], v[44:45], v[14:15], v[52:53] op_sel:[0,0,1] op_sel_hi:[0,1,0]
	v_mov_b32_e32 v4, v35
	v_mov_b32_e32 v30, v35
	v_pk_mul_f32 v[34:35], v[32:33], v[6:7] op_sel_hi:[0,1]
	v_pk_add_f32 v[70:71], v[110:111], v[106:107] neg_lo:[0,1] neg_hi:[0,1]
	v_mov_b32_e32 v83, v15
	v_pk_mul_f32 v[14:15], v[88:89], v[8:9] op_sel:[1,0]
	s_mov_b32 s34, 0xbf65296c
	v_mov_b32_e32 v121, v5
	v_pk_fma_f32 v[76:77], v[4:5], v[6:7], v[34:35] op_sel:[0,0,1] op_sel_hi:[1,1,0] neg_lo:[0,0,1] neg_hi:[0,0,1]
	v_pk_fma_f32 v[4:5], v[30:31], v[6:7], v[34:35] op_sel:[0,0,1] op_sel_hi:[0,1,0]
	v_mov_b32_e32 v30, v33
	v_pk_add_f32 v[26:27], v[106:107], v[110:111]
	v_pk_fma_f32 v[52:53], v[44:45], v[8:9], v[14:15] op_sel:[1,0,1] op_sel_hi:[1,1,0] neg_lo:[0,0,1] neg_hi:[0,0,1]
	v_pk_fma_f32 v[8:9], v[44:45], v[8:9], v[14:15] op_sel:[1,0,1] op_sel_hi:[1,1,0]
	s_mov_b32 s2, 0x3ee437d1
	v_pk_mul_f32 v[44:45], v[70:71], s[34:35] op_sel:[1,0] op_sel_hi:[0,0]
	v_mov_b32_e32 v77, v5
	v_pk_add_f32 v[4:5], v[30:31], v[120:121]
	v_pk_add_f32 v[4:5], v[4:5], v[76:77]
	v_pk_fma_f32 v[34:35], v[26:27], s[2:3], v[44:45] op_sel_hi:[1,0,1]
	v_pk_add_f32 v[4:5], v[4:5], v[110:111]
	v_mov_b32_e32 v110, v34
	v_mov_b32_e32 v34, v101
	;; [unrolled: 1-line block ×4, first 2 shown]
	v_pk_mul_f32 v[68:69], v[34:35], v[2:3] op_sel_hi:[0,1]
	v_pk_add_f32 v[4:5], v[4:5], v[112:113]
	v_pk_fma_f32 v[100:101], v[6:7], v[2:3], v[68:69] op_sel:[0,0,1] op_sel_hi:[1,1,0] neg_lo:[0,0,1] neg_hi:[0,0,1]
	v_pk_fma_f32 v[2:3], v[32:33], v[2:3], v[68:69] op_sel:[0,0,1] op_sel_hi:[0,1,0]
	v_mov_b32_e32 v32, v81
	v_mov_b32_e32 v87, v23
	v_pk_add_f32 v[4:5], v[4:5], v[114:115]
	v_mov_b32_e32 v2, v37
	v_pk_mul_f32 v[32:33], v[32:33], v[0:1] op_sel_hi:[0,1]
	v_mov_b32_e32 v49, v11
	v_mov_b32_e32 v6, v37
	v_pk_fma_f32 v[36:37], v[2:3], v[0:1], v[32:33] op_sel:[0,0,1] op_sel_hi:[1,1,0] neg_lo:[0,0,1] neg_hi:[0,0,1]
	v_mov_b32_e32 v101, v3
	v_pk_add_f32 v[2:3], v[4:5], v[86:87]
	v_pk_add_f32 v[10:11], v[48:49], v[64:65]
	v_pk_add_f32 v[12:13], v[64:65], v[48:49] neg_lo:[0,1] neg_hi:[0,1]
	v_pk_add_f32 v[64:65], v[2:3], v[64:65]
	v_mov_b32_e32 v53, v9
	v_pk_add_f32 v[64:65], v[64:65], v[82:83]
	v_pk_add_f32 v[8:9], v[52:53], v[82:83]
	v_pk_add_f32 v[14:15], v[82:83], v[52:53] neg_lo:[0,1] neg_hi:[0,1]
	v_pk_add_f32 v[52:53], v[52:53], v[64:65]
	v_mov_b32_e32 v93, v17
	v_pk_add_f32 v[48:49], v[48:49], v[52:53]
	v_mov_b32_e32 v57, v19
	;; [unrolled: 2-line block ×3, first 2 shown]
	v_pk_fma_f32 v[0:1], v[6:7], v[0:1], v[32:33] op_sel:[0,0,1] op_sel_hi:[0,1,0]
	v_pk_add_f32 v[48:49], v[56:57], v[48:49]
	v_mov_b32_e32 v37, v1
	v_pk_add_f32 v[32:33], v[120:121], v[100:101] neg_lo:[0,1] neg_hi:[0,1]
	s_mov_b32 s28, 0xbeb8f4ab
	v_pk_add_f32 v[48:49], v[108:109], v[48:49]
	v_pk_add_f32 v[4:5], v[100:101], v[120:121]
	;; [unrolled: 1-line block ×3, first 2 shown]
	v_pk_add_f32 v[6:7], v[76:77], v[36:37] neg_lo:[0,1] neg_hi:[0,1]
	s_mov_b32 s24, 0x3f6eb680
	v_pk_mul_f32 v[76:77], v[32:33], s[28:29] op_sel:[1,0] op_sel_hi:[0,0]
	s_mov_b32 s36, 0xbf2c7751
	v_pk_add_f32 v[48:49], v[106:107], v[48:49]
	s_mov_b32 s22, 0x3f3d2fb0
	v_pk_mul_f32 v[64:65], v[6:7], s[36:37] op_sel:[1,0] op_sel_hi:[0,0]
	v_pk_add_f32 v[36:37], v[36:37], v[48:49]
	v_pk_fma_f32 v[48:49], v[4:5], s[24:25], v[76:77] op_sel_hi:[1,0,1]
	v_pk_fma_f32 v[52:53], v[4:5], s[24:25], v[76:77] op_sel_hi:[1,0,1] neg_lo:[0,0,1] neg_hi:[0,0,1]
	v_pk_add_f32 v[72:73], v[112:113], v[108:109] neg_lo:[0,1] neg_hi:[0,1]
	v_pk_add_f32 v[18:19], v[56:57], v[114:115]
	v_pk_add_f32 v[20:21], v[114:115], v[56:57] neg_lo:[0,1] neg_hi:[0,1]
	s_mov_b32 s20, 0xbf7ee86f
	v_pk_add_f32 v[36:37], v[100:101], v[36:37]
	v_mov_b32_e32 v57, v53
	v_pk_fma_f32 v[76:77], v[2:3], s[22:23], v[64:65] op_sel_hi:[1,0,1]
	v_pk_fma_f32 v[64:65], v[2:3], s[22:23], v[64:65] op_sel_hi:[1,0,1] neg_lo:[0,0,1] neg_hi:[0,0,1]
	v_mov_b32_e32 v53, v49
	v_pk_add_f32 v[24:25], v[108:109], v[112:113]
	s_mov_b32 s0, 0x3dbcf732
	v_pk_mul_f32 v[88:89], v[72:73], s[20:21] op_sel:[1,0] op_sel_hi:[0,0]
	s_mov_b32 s6, 0xbf763a35
	v_pk_fma_f32 v[44:45], v[26:27], s[2:3], v[44:45] op_sel_hi:[1,0,1] neg_lo:[0,0,1] neg_hi:[0,0,1]
	v_mov_b32_e32 v83, v65
	global_store_dwordx2 v[104:105], v[36:37], off
	v_pk_add_f32 v[36:37], v[30:31], v[52:53]
	v_mov_b32_e32 v65, v77
	v_pk_add_f32 v[22:23], v[86:87], v[92:93] neg_lo:[0,1] neg_hi:[0,1]
	s_mov_b32 s4, 0xbe8c1d8e
	v_pk_mul_f32 v[90:91], v[20:21], s[6:7] op_sel:[1,0] op_sel_hi:[0,0]
	s_mov_b32 s10, 0xbf4c4adb
	v_mov_b32_e32 v111, v45
	v_pk_fma_f32 v[112:113], v[24:25], s[0:1], v[88:89] op_sel_hi:[1,0,1]
	v_pk_fma_f32 v[88:89], v[24:25], s[0:1], v[88:89] op_sel_hi:[1,0,1] neg_lo:[0,0,1] neg_hi:[0,0,1]
	v_pk_add_f32 v[36:37], v[36:37], v[64:65]
	v_mov_b32_e32 v45, v35
	v_pk_add_f32 v[16:17], v[92:93], v[86:87]
	s_mov_b32 s8, 0xbf1a4643
	v_pk_mul_f32 v[94:95], v[22:23], s[10:11] op_sel:[1,0] op_sel_hi:[0,0]
	s_mov_b32 s14, 0xbf06c442
	v_mov_b32_e32 v115, v89
	v_pk_fma_f32 v[118:119], v[18:19], s[4:5], v[90:91] op_sel_hi:[1,0,1]
	v_pk_fma_f32 v[90:91], v[18:19], s[4:5], v[90:91] op_sel_hi:[1,0,1] neg_lo:[0,0,1] neg_hi:[0,0,1]
	v_pk_add_f32 v[34:35], v[36:37], v[44:45]
	v_mov_b32_e32 v89, v113
	s_mov_b32 s12, 0xbf59a7d5
	v_pk_mul_f32 v[98:99], v[12:13], s[14:15] op_sel:[1,0] op_sel_hi:[0,0]
	s_mov_b32 s18, 0xbe3c28d5
	v_mov_b32_e32 v123, v91
	v_pk_fma_f32 v[124:125], v[16:17], s[8:9], v[94:95] op_sel_hi:[1,0,1]
	v_pk_fma_f32 v[94:95], v[16:17], s[8:9], v[94:95] op_sel_hi:[1,0,1] neg_lo:[0,0,1] neg_hi:[0,0,1]
	v_pk_add_f32 v[34:35], v[34:35], v[88:89]
	v_mov_b32_e32 v91, v119
	s_mov_b32 s16, 0xbf7ba420
	v_pk_mul_f32 v[116:117], v[14:15], s[18:19] op_sel:[1,0] op_sel_hi:[0,0]
	v_mov_b32_e32 v69, v95
	v_pk_fma_f32 v[80:81], v[10:11], s[12:13], v[98:99] op_sel_hi:[1,0,1]
	v_pk_fma_f32 v[98:99], v[10:11], s[12:13], v[98:99] op_sel_hi:[1,0,1] neg_lo:[0,0,1] neg_hi:[0,0,1]
	v_pk_add_f32 v[34:35], v[34:35], v[90:91]
	v_mov_b32_e32 v95, v125
	v_mov_b32_e32 v127, v99
	v_pk_fma_f32 v[128:129], v[8:9], s[16:17], v[116:117] op_sel_hi:[1,0,1]
	v_pk_fma_f32 v[116:117], v[8:9], s[16:17], v[116:117] op_sel_hi:[1,0,1] neg_lo:[0,0,1] neg_hi:[0,0,1]
	v_pk_add_f32 v[34:35], v[34:35], v[94:95]
	v_mov_b32_e32 v99, v81
	v_mov_b32_e32 v1, v117
	v_pk_add_f32 v[34:35], v[34:35], v[98:99]
	v_mov_b32_e32 v117, v129
	v_pk_add_f32 v[34:35], v[34:35], v[116:117]
	v_mov_b32_e32 v56, v48
	global_store_dwordx2 v[102:103], v[34:35], off
	v_pk_mul_f32 v[34:35], v[32:33], s[36:37] op_sel:[1,0] op_sel_hi:[0,0]
	v_mov_b32_e32 v126, v80
	v_pk_add_f32 v[56:57], v[30:31], v[56:57]
	v_mov_b32_e32 v82, v76
	v_pk_mul_f32 v[36:37], v[6:7], s[20:21] op_sel:[1,0] op_sel_hi:[0,0]
	v_pk_fma_f32 v[76:77], v[4:5], s[22:23], v[34:35] op_sel_hi:[1,0,1]
	v_pk_fma_f32 v[80:81], v[4:5], s[22:23], v[34:35] op_sel_hi:[1,0,1] neg_lo:[0,0,1] neg_hi:[0,0,1]
	v_pk_add_f32 v[56:57], v[56:57], v[82:83]
	v_mov_b32_e32 v34, v76
	v_mov_b32_e32 v35, v81
	v_pk_fma_f32 v[82:83], v[2:3], s[0:1], v[36:37] op_sel_hi:[1,0,1]
	v_pk_fma_f32 v[36:37], v[2:3], s[0:1], v[36:37] op_sel_hi:[1,0,1] neg_lo:[0,0,1] neg_hi:[0,0,1]
	v_pk_mul_f32 v[44:45], v[70:71], s[10:11] op_sel:[1,0] op_sel_hi:[0,0]
	v_pk_add_f32 v[34:35], v[30:31], v[34:35]
	v_mov_b32_e32 v86, v82
	v_mov_b32_e32 v87, v37
	;; [unrolled: 1-line block ×3, first 2 shown]
	v_pk_add_f32 v[56:57], v[56:57], v[110:111]
	v_pk_add_f32 v[34:35], v[34:35], v[86:87]
	v_pk_fma_f32 v[86:87], v[26:27], s[8:9], v[44:45] op_sel_hi:[1,0,1]
	v_pk_fma_f32 v[44:45], v[26:27], s[8:9], v[44:45] op_sel_hi:[1,0,1] neg_lo:[0,0,1] neg_hi:[0,0,1]
	v_mov_b32_e32 v122, v118
	v_pk_add_f32 v[56:57], v[56:57], v[114:115]
	v_pk_mul_f32 v[48:49], v[72:73], s[18:19] op_sel:[1,0] op_sel_hi:[0,0]
	v_mov_b32_e32 v88, v86
	v_mov_b32_e32 v89, v45
	;; [unrolled: 1-line block ×3, first 2 shown]
	v_pk_add_f32 v[56:57], v[56:57], v[122:123]
	s_mov_b32 s42, 0x3f06c442
	v_pk_add_f32 v[34:35], v[34:35], v[88:89]
	v_pk_fma_f32 v[88:89], v[24:25], s[16:17], v[48:49] op_sel_hi:[1,0,1]
	v_pk_fma_f32 v[48:49], v[24:25], s[16:17], v[48:49] op_sel_hi:[1,0,1] neg_lo:[0,0,1] neg_hi:[0,0,1]
	v_pk_add_f32 v[56:57], v[56:57], v[68:69]
	v_pk_mul_f32 v[52:53], v[20:21], s[42:43] op_sel:[1,0] op_sel_hi:[0,0]
	v_mov_b32_e32 v90, v88
	v_mov_b32_e32 v91, v49
	;; [unrolled: 1-line block ×3, first 2 shown]
	v_pk_add_f32 v[56:57], v[56:57], v[126:127]
	s_mov_b32 s40, 0x3f763a35
	v_pk_add_f32 v[34:35], v[34:35], v[90:91]
	v_pk_fma_f32 v[90:91], v[18:19], s[12:13], v[52:53] op_sel_hi:[1,0,1]
	v_pk_fma_f32 v[52:53], v[18:19], s[12:13], v[52:53] op_sel_hi:[1,0,1] neg_lo:[0,0,1] neg_hi:[0,0,1]
	v_mov_b32_e32 v81, v77
	v_pk_add_f32 v[0:1], v[56:57], v[0:1]
	v_pk_mul_f32 v[56:57], v[22:23], s[40:41] op_sel:[1,0] op_sel_hi:[0,0]
	v_mov_b32_e32 v92, v90
	v_mov_b32_e32 v93, v53
	v_pk_add_f32 v[76:77], v[30:31], v[80:81]
	v_mov_b32_e32 v37, v83
	s_mov_b32 s26, 0x3f65296c
	v_pk_add_f32 v[34:35], v[34:35], v[92:93]
	v_pk_fma_f32 v[92:93], v[16:17], s[4:5], v[56:57] op_sel_hi:[1,0,1]
	v_pk_fma_f32 v[56:57], v[16:17], s[4:5], v[56:57] op_sel_hi:[1,0,1] neg_lo:[0,0,1] neg_hi:[0,0,1]
	v_pk_add_f32 v[36:37], v[76:77], v[36:37]
	v_mov_b32_e32 v45, v87
	v_pk_mul_f32 v[64:65], v[12:13], s[26:27] op_sel:[1,0] op_sel_hi:[0,0]
	v_mov_b32_e32 v94, v92
	v_mov_b32_e32 v95, v57
	v_pk_add_f32 v[36:37], v[36:37], v[44:45]
	v_mov_b32_e32 v49, v89
	s_mov_b32 s30, 0x3eb8f4ab
	v_pk_add_f32 v[34:35], v[34:35], v[94:95]
	v_pk_fma_f32 v[94:95], v[10:11], s[2:3], v[64:65] op_sel_hi:[1,0,1]
	v_pk_fma_f32 v[64:65], v[10:11], s[2:3], v[64:65] op_sel_hi:[1,0,1] neg_lo:[0,0,1] neg_hi:[0,0,1]
	v_pk_add_f32 v[36:37], v[36:37], v[48:49]
	v_mov_b32_e32 v53, v91
	v_pk_mul_f32 v[68:69], v[14:15], s[30:31] op_sel:[1,0] op_sel_hi:[0,0]
	v_mov_b32_e32 v98, v94
	v_mov_b32_e32 v99, v65
	v_pk_add_f32 v[36:37], v[36:37], v[52:53]
	v_mov_b32_e32 v57, v93
	v_pk_add_f32 v[34:35], v[34:35], v[98:99]
	v_pk_fma_f32 v[98:99], v[8:9], s[24:25], v[68:69] op_sel_hi:[1,0,1]
	v_pk_fma_f32 v[68:69], v[8:9], s[24:25], v[68:69] op_sel_hi:[1,0,1] neg_lo:[0,0,1] neg_hi:[0,0,1]
	v_pk_add_f32 v[36:37], v[36:37], v[56:57]
	v_mov_b32_e32 v65, v95
	v_mov_b32_e32 v101, v69
	v_pk_add_f32 v[36:37], v[36:37], v[64:65]
	v_mov_b32_e32 v69, v99
	v_pk_add_f32 v[36:37], v[36:37], v[68:69]
	global_store_dwordx2 v[96:97], v[36:37], off
	v_pk_mul_f32 v[36:37], v[32:33], s[34:35] op_sel:[1,0] op_sel_hi:[0,0]
	v_pk_fma_f32 v[44:45], v[4:5], s[2:3], v[36:37] op_sel_hi:[1,0,1]
	v_pk_fma_f32 v[48:49], v[4:5], s[2:3], v[36:37] op_sel_hi:[1,0,1] neg_lo:[0,0,1] neg_hi:[0,0,1]
	v_pk_mul_f32 v[52:53], v[6:7], s[10:11] op_sel:[1,0] op_sel_hi:[0,0]
	v_mov_b32_e32 v36, v44
	v_mov_b32_e32 v37, v49
	v_pk_fma_f32 v[56:57], v[2:3], s[8:9], v[52:53] op_sel_hi:[1,0,1]
	v_pk_fma_f32 v[52:53], v[2:3], s[8:9], v[52:53] op_sel_hi:[1,0,1] neg_lo:[0,0,1] neg_hi:[0,0,1]
	v_pk_add_f32 v[36:37], v[30:31], v[36:37]
	v_mov_b32_e32 v64, v56
	v_mov_b32_e32 v65, v53
	s_mov_b32 s38, 0x3e3c28d5
	v_pk_add_f32 v[36:37], v[36:37], v[64:65]
	v_pk_mul_f32 v[64:65], v[70:71], s[38:39] op_sel:[1,0] op_sel_hi:[0,0]
	v_pk_fma_f32 v[68:69], v[26:27], s[16:17], v[64:65] op_sel_hi:[1,0,1]
	v_pk_fma_f32 v[64:65], v[26:27], s[16:17], v[64:65] op_sel_hi:[1,0,1] neg_lo:[0,0,1] neg_hi:[0,0,1]
	v_mov_b32_e32 v76, v68
	v_mov_b32_e32 v77, v65
	v_pk_add_f32 v[36:37], v[36:37], v[76:77]
	v_pk_mul_f32 v[76:77], v[72:73], s[40:41] op_sel:[1,0] op_sel_hi:[0,0]
	v_pk_fma_f32 v[80:81], v[24:25], s[4:5], v[76:77] op_sel_hi:[1,0,1]
	v_pk_fma_f32 v[76:77], v[24:25], s[4:5], v[76:77] op_sel_hi:[1,0,1] neg_lo:[0,0,1] neg_hi:[0,0,1]
	v_mov_b32_e32 v82, v80
	v_mov_b32_e32 v83, v77
	s_mov_b32 s38, 0x3f2c7751
	v_pk_add_f32 v[36:37], v[36:37], v[82:83]
	v_pk_mul_f32 v[82:83], v[20:21], s[38:39] op_sel:[1,0] op_sel_hi:[0,0]
	v_pk_fma_f32 v[86:87], v[18:19], s[22:23], v[82:83] op_sel_hi:[1,0,1]
	v_pk_fma_f32 v[82:83], v[18:19], s[22:23], v[82:83] op_sel_hi:[1,0,1] neg_lo:[0,0,1] neg_hi:[0,0,1]
	v_mov_b32_e32 v88, v86
	v_mov_b32_e32 v89, v83
	v_pk_add_f32 v[36:37], v[36:37], v[88:89]
	v_pk_mul_f32 v[88:89], v[22:23], s[28:29] op_sel:[1,0] op_sel_hi:[0,0]
	v_pk_fma_f32 v[90:91], v[16:17], s[24:25], v[88:89] op_sel_hi:[1,0,1]
	v_pk_fma_f32 v[88:89], v[16:17], s[24:25], v[88:89] op_sel_hi:[1,0,1] neg_lo:[0,0,1] neg_hi:[0,0,1]
	v_mov_b32_e32 v49, v45
	v_mov_b32_e32 v92, v90
	;; [unrolled: 1-line block ×3, first 2 shown]
	v_pk_add_f32 v[44:45], v[30:31], v[48:49]
	v_mov_b32_e32 v53, v57
	v_pk_add_f32 v[36:37], v[36:37], v[92:93]
	v_pk_mul_f32 v[92:93], v[12:13], s[20:21] op_sel:[1,0] op_sel_hi:[0,0]
	v_pk_add_f32 v[44:45], v[44:45], v[52:53]
	v_mov_b32_e32 v65, v69
	v_pk_fma_f32 v[94:95], v[10:11], s[0:1], v[92:93] op_sel_hi:[1,0,1]
	v_pk_fma_f32 v[92:93], v[10:11], s[0:1], v[92:93] op_sel_hi:[1,0,1] neg_lo:[0,0,1] neg_hi:[0,0,1]
	v_pk_add_f32 v[44:45], v[44:45], v[64:65]
	v_mov_b32_e32 v77, v81
	v_mov_b32_e32 v96, v94
	;; [unrolled: 1-line block ×3, first 2 shown]
	v_pk_add_f32 v[44:45], v[44:45], v[76:77]
	v_mov_b32_e32 v83, v87
	v_pk_add_f32 v[36:37], v[36:37], v[96:97]
	v_pk_mul_f32 v[96:97], v[14:15], s[14:15] op_sel:[1,0] op_sel_hi:[0,0]
	v_pk_add_f32 v[44:45], v[44:45], v[82:83]
	v_mov_b32_e32 v89, v91
	v_mov_b32_e32 v100, v98
	v_pk_fma_f32 v[98:99], v[8:9], s[12:13], v[96:97] op_sel_hi:[1,0,1]
	v_pk_fma_f32 v[96:97], v[8:9], s[12:13], v[96:97] op_sel_hi:[1,0,1] neg_lo:[0,0,1] neg_hi:[0,0,1]
	v_pk_add_f32 v[44:45], v[44:45], v[88:89]
	v_mov_b32_e32 v93, v95
	v_pk_add_f32 v[34:35], v[34:35], v[100:101]
	v_mov_b32_e32 v101, v97
	;; [unrolled: 2-line block ×3, first 2 shown]
	v_pk_add_f32 v[44:45], v[44:45], v[96:97]
	global_store_dwordx2 v[84:85], v[44:45], off
	v_pk_mul_f32 v[44:45], v[32:33], s[20:21] op_sel:[1,0] op_sel_hi:[0,0]
	v_pk_fma_f32 v[48:49], v[4:5], s[0:1], v[44:45] op_sel_hi:[1,0,1]
	v_pk_fma_f32 v[52:53], v[4:5], s[0:1], v[44:45] op_sel_hi:[1,0,1] neg_lo:[0,0,1] neg_hi:[0,0,1]
	v_pk_mul_f32 v[56:57], v[6:7], s[18:19] op_sel:[1,0] op_sel_hi:[0,0]
	v_mov_b32_e32 v44, v48
	v_mov_b32_e32 v45, v53
	v_pk_fma_f32 v[64:65], v[2:3], s[16:17], v[56:57] op_sel_hi:[1,0,1]
	v_pk_fma_f32 v[56:57], v[2:3], s[16:17], v[56:57] op_sel_hi:[1,0,1] neg_lo:[0,0,1] neg_hi:[0,0,1]
	v_pk_add_f32 v[44:45], v[30:31], v[44:45]
	v_mov_b32_e32 v68, v64
	v_mov_b32_e32 v69, v57
	v_pk_add_f32 v[44:45], v[44:45], v[68:69]
	v_pk_mul_f32 v[68:69], v[70:71], s[40:41] op_sel:[1,0] op_sel_hi:[0,0]
	v_pk_fma_f32 v[76:77], v[26:27], s[4:5], v[68:69] op_sel_hi:[1,0,1]
	v_pk_fma_f32 v[68:69], v[26:27], s[4:5], v[68:69] op_sel_hi:[1,0,1] neg_lo:[0,0,1] neg_hi:[0,0,1]
	v_mov_b32_e32 v80, v76
	v_mov_b32_e32 v81, v69
	v_pk_add_f32 v[44:45], v[44:45], v[80:81]
	v_pk_mul_f32 v[80:81], v[72:73], s[30:31] op_sel:[1,0] op_sel_hi:[0,0]
	v_pk_fma_f32 v[82:83], v[24:25], s[24:25], v[80:81] op_sel_hi:[1,0,1]
	v_pk_fma_f32 v[80:81], v[24:25], s[24:25], v[80:81] op_sel_hi:[1,0,1] neg_lo:[0,0,1] neg_hi:[0,0,1]
	;; [unrolled: 6-line block ×4, first 2 shown]
	v_mov_b32_e32 v53, v49
	v_mov_b32_e32 v92, v90
	;; [unrolled: 1-line block ×3, first 2 shown]
	s_mov_b32 s44, 0x3f4c4adb
	v_pk_add_f32 v[48:49], v[30:31], v[52:53]
	v_mov_b32_e32 v57, v65
	v_pk_add_f32 v[44:45], v[44:45], v[92:93]
	v_pk_mul_f32 v[92:93], v[12:13], s[44:45] op_sel:[1,0] op_sel_hi:[0,0]
	v_pk_add_f32 v[48:49], v[48:49], v[56:57]
	v_mov_b32_e32 v69, v77
	v_pk_fma_f32 v[94:95], v[10:11], s[8:9], v[92:93] op_sel_hi:[1,0,1]
	v_pk_fma_f32 v[92:93], v[10:11], s[8:9], v[92:93] op_sel_hi:[1,0,1] neg_lo:[0,0,1] neg_hi:[0,0,1]
	v_pk_add_f32 v[48:49], v[48:49], v[68:69]
	v_mov_b32_e32 v81, v83
	v_mov_b32_e32 v96, v94
	;; [unrolled: 1-line block ×3, first 2 shown]
	v_pk_add_f32 v[48:49], v[48:49], v[80:81]
	v_mov_b32_e32 v85, v87
	v_pk_add_f32 v[44:45], v[44:45], v[96:97]
	v_pk_mul_f32 v[96:97], v[14:15], s[38:39] op_sel:[1,0] op_sel_hi:[0,0]
	v_pk_add_f32 v[48:49], v[48:49], v[84:85]
	v_mov_b32_e32 v89, v91
	v_mov_b32_e32 v100, v98
	v_pk_fma_f32 v[98:99], v[8:9], s[22:23], v[96:97] op_sel_hi:[1,0,1]
	v_pk_fma_f32 v[96:97], v[8:9], s[22:23], v[96:97] op_sel_hi:[1,0,1] neg_lo:[0,0,1] neg_hi:[0,0,1]
	v_pk_add_f32 v[48:49], v[48:49], v[88:89]
	v_mov_b32_e32 v93, v95
	v_pk_add_f32 v[36:37], v[36:37], v[100:101]
	v_mov_b32_e32 v101, v97
	;; [unrolled: 2-line block ×3, first 2 shown]
	v_pk_add_f32 v[48:49], v[48:49], v[96:97]
	global_store_dwordx2 v[78:79], v[48:49], off
	v_pk_mul_f32 v[48:49], v[32:33], s[6:7] op_sel:[1,0] op_sel_hi:[0,0]
	v_pk_fma_f32 v[52:53], v[4:5], s[4:5], v[48:49] op_sel_hi:[1,0,1]
	v_pk_fma_f32 v[48:49], v[4:5], s[4:5], v[48:49] op_sel_hi:[1,0,1] neg_lo:[0,0,1] neg_hi:[0,0,1]
	v_pk_mul_f32 v[64:65], v[6:7], s[42:43] op_sel:[1,0] op_sel_hi:[0,0]
	v_mov_b32_e32 v56, v52
	v_mov_b32_e32 v57, v49
	v_pk_fma_f32 v[68:69], v[2:3], s[12:13], v[64:65] op_sel_hi:[1,0,1]
	v_pk_fma_f32 v[64:65], v[2:3], s[12:13], v[64:65] op_sel_hi:[1,0,1] neg_lo:[0,0,1] neg_hi:[0,0,1]
	v_pk_add_f32 v[56:57], v[30:31], v[56:57]
	v_mov_b32_e32 v76, v68
	v_mov_b32_e32 v77, v65
	v_pk_add_f32 v[56:57], v[56:57], v[76:77]
	v_pk_mul_f32 v[76:77], v[70:71], s[38:39] op_sel:[1,0] op_sel_hi:[0,0]
	v_pk_fma_f32 v[78:79], v[26:27], s[22:23], v[76:77] op_sel_hi:[1,0,1]
	v_pk_fma_f32 v[76:77], v[26:27], s[22:23], v[76:77] op_sel_hi:[1,0,1] neg_lo:[0,0,1] neg_hi:[0,0,1]
	v_mov_b32_e32 v80, v78
	v_mov_b32_e32 v81, v77
	v_pk_add_f32 v[56:57], v[56:57], v[80:81]
	v_pk_mul_f32 v[80:81], v[72:73], s[34:35] op_sel:[1,0] op_sel_hi:[0,0]
	v_pk_fma_f32 v[82:83], v[24:25], s[2:3], v[80:81] op_sel_hi:[1,0,1]
	v_pk_fma_f32 v[80:81], v[24:25], s[2:3], v[80:81] op_sel_hi:[1,0,1] neg_lo:[0,0,1] neg_hi:[0,0,1]
	;; [unrolled: 6-line block ×3, first 2 shown]
	v_mov_b32_e32 v88, v86
	v_mov_b32_e32 v89, v85
	s_mov_b32 s34, 0x3f7ee86f
	v_pk_add_f32 v[56:57], v[56:57], v[88:89]
	v_pk_mul_f32 v[88:89], v[22:23], s[34:35] op_sel:[1,0] op_sel_hi:[0,0]
	v_pk_fma_f32 v[90:91], v[16:17], s[0:1], v[88:89] op_sel_hi:[1,0,1]
	v_pk_fma_f32 v[88:89], v[16:17], s[0:1], v[88:89] op_sel_hi:[1,0,1] neg_lo:[0,0,1] neg_hi:[0,0,1]
	v_mov_b32_e32 v49, v53
	v_mov_b32_e32 v92, v90
	;; [unrolled: 1-line block ×3, first 2 shown]
	v_pk_add_f32 v[48:49], v[30:31], v[48:49]
	v_mov_b32_e32 v65, v69
	v_pk_add_f32 v[56:57], v[56:57], v[92:93]
	v_pk_mul_f32 v[92:93], v[12:13], s[28:29] op_sel:[1,0] op_sel_hi:[0,0]
	v_pk_add_f32 v[48:49], v[48:49], v[64:65]
	v_mov_b32_e32 v77, v79
	v_pk_fma_f32 v[94:95], v[10:11], s[24:25], v[92:93] op_sel_hi:[1,0,1]
	v_pk_fma_f32 v[92:93], v[10:11], s[24:25], v[92:93] op_sel_hi:[1,0,1] neg_lo:[0,0,1] neg_hi:[0,0,1]
	v_pk_add_f32 v[48:49], v[48:49], v[76:77]
	v_mov_b32_e32 v81, v83
	v_mov_b32_e32 v96, v94
	;; [unrolled: 1-line block ×3, first 2 shown]
	v_pk_add_f32 v[48:49], v[48:49], v[80:81]
	v_mov_b32_e32 v85, v87
	v_pk_add_f32 v[56:57], v[56:57], v[96:97]
	v_pk_mul_f32 v[96:97], v[14:15], s[10:11] op_sel:[1,0] op_sel_hi:[0,0]
	v_pk_add_f32 v[48:49], v[48:49], v[84:85]
	v_mov_b32_e32 v89, v91
	v_mov_b32_e32 v100, v98
	v_pk_fma_f32 v[98:99], v[8:9], s[8:9], v[96:97] op_sel_hi:[1,0,1]
	v_pk_fma_f32 v[96:97], v[8:9], s[8:9], v[96:97] op_sel_hi:[1,0,1] neg_lo:[0,0,1] neg_hi:[0,0,1]
	v_pk_add_f32 v[48:49], v[48:49], v[88:89]
	v_mov_b32_e32 v93, v95
	v_pk_add_f32 v[44:45], v[44:45], v[100:101]
	v_mov_b32_e32 v101, v97
	;; [unrolled: 2-line block ×3, first 2 shown]
	v_pk_add_f32 v[48:49], v[48:49], v[96:97]
	global_store_dwordx2 v[74:75], v[48:49], off
	v_pk_mul_f32 v[48:49], v[32:33], s[10:11] op_sel:[1,0] op_sel_hi:[0,0]
	v_pk_mul_f32 v[52:53], v[6:7], s[40:41] op_sel:[1,0] op_sel_hi:[0,0]
	v_pk_fma_f32 v[82:83], v[4:5], s[8:9], v[48:49] op_sel_hi:[1,0,1]
	v_pk_fma_f32 v[48:49], v[4:5], s[8:9], v[48:49] op_sel_hi:[1,0,1] neg_lo:[0,0,1] neg_hi:[0,0,1]
	v_mov_b32_e32 v84, v82
	v_mov_b32_e32 v85, v49
	v_pk_fma_f32 v[86:87], v[2:3], s[4:5], v[52:53] op_sel_hi:[1,0,1]
	v_pk_fma_f32 v[52:53], v[2:3], s[4:5], v[52:53] op_sel_hi:[1,0,1] neg_lo:[0,0,1] neg_hi:[0,0,1]
	v_pk_mul_f32 v[64:65], v[70:71], s[28:29] op_sel:[1,0] op_sel_hi:[0,0]
	v_pk_add_f32 v[84:85], v[30:31], v[84:85]
	v_mov_b32_e32 v88, v86
	v_mov_b32_e32 v89, v53
	v_pk_add_f32 v[84:85], v[84:85], v[88:89]
	v_pk_fma_f32 v[88:89], v[26:27], s[24:25], v[64:65] op_sel_hi:[1,0,1]
	v_pk_fma_f32 v[64:65], v[26:27], s[24:25], v[64:65] op_sel_hi:[1,0,1] neg_lo:[0,0,1] neg_hi:[0,0,1]
	v_pk_mul_f32 v[68:69], v[72:73], s[14:15] op_sel:[1,0] op_sel_hi:[0,0]
	v_mov_b32_e32 v90, v88
	v_mov_b32_e32 v91, v65
	v_pk_add_f32 v[84:85], v[84:85], v[90:91]
	v_pk_fma_f32 v[90:91], v[24:25], s[12:13], v[68:69] op_sel_hi:[1,0,1]
	v_pk_fma_f32 v[68:69], v[24:25], s[12:13], v[68:69] op_sel_hi:[1,0,1] neg_lo:[0,0,1] neg_hi:[0,0,1]
	v_pk_mul_f32 v[74:75], v[20:21], s[34:35] op_sel:[1,0] op_sel_hi:[0,0]
	v_mov_b32_e32 v92, v90
	v_mov_b32_e32 v93, v69
	v_pk_add_f32 v[84:85], v[84:85], v[92:93]
	v_pk_fma_f32 v[92:93], v[18:19], s[0:1], v[74:75] op_sel_hi:[1,0,1]
	v_pk_fma_f32 v[74:75], v[18:19], s[0:1], v[74:75] op_sel_hi:[1,0,1] neg_lo:[0,0,1] neg_hi:[0,0,1]
	v_mov_b32_e32 v49, v83
	v_pk_mul_f32 v[76:77], v[22:23], s[36:37] op_sel:[1,0] op_sel_hi:[0,0]
	v_mov_b32_e32 v94, v92
	v_mov_b32_e32 v95, v75
	v_pk_add_f32 v[48:49], v[30:31], v[48:49]
	v_mov_b32_e32 v53, v87
	v_pk_add_f32 v[84:85], v[84:85], v[94:95]
	v_pk_fma_f32 v[94:95], v[16:17], s[22:23], v[76:77] op_sel_hi:[1,0,1]
	v_pk_fma_f32 v[76:77], v[16:17], s[22:23], v[76:77] op_sel_hi:[1,0,1] neg_lo:[0,0,1] neg_hi:[0,0,1]
	v_pk_add_f32 v[48:49], v[48:49], v[52:53]
	v_mov_b32_e32 v65, v89
	v_pk_mul_f32 v[78:79], v[12:13], s[18:19] op_sel:[1,0] op_sel_hi:[0,0]
	v_mov_b32_e32 v96, v94
	v_mov_b32_e32 v97, v77
	v_pk_add_f32 v[48:49], v[48:49], v[64:65]
	v_mov_b32_e32 v69, v91
	v_pk_add_f32 v[84:85], v[84:85], v[96:97]
	v_pk_fma_f32 v[96:97], v[10:11], s[16:17], v[78:79] op_sel_hi:[1,0,1]
	v_pk_fma_f32 v[78:79], v[10:11], s[16:17], v[78:79] op_sel_hi:[1,0,1] neg_lo:[0,0,1] neg_hi:[0,0,1]
	v_pk_add_f32 v[48:49], v[48:49], v[68:69]
	v_mov_b32_e32 v75, v93
	v_mov_b32_e32 v100, v98
	v_pk_mul_f32 v[80:81], v[14:15], s[26:27] op_sel:[1,0] op_sel_hi:[0,0]
	v_mov_b32_e32 v98, v96
	v_mov_b32_e32 v99, v79
	v_pk_add_f32 v[48:49], v[48:49], v[74:75]
	v_mov_b32_e32 v77, v95
	v_pk_add_f32 v[84:85], v[84:85], v[98:99]
	v_pk_fma_f32 v[98:99], v[8:9], s[2:3], v[80:81] op_sel_hi:[1,0,1]
	v_pk_fma_f32 v[80:81], v[8:9], s[2:3], v[80:81] op_sel_hi:[1,0,1] neg_lo:[0,0,1] neg_hi:[0,0,1]
	v_pk_add_f32 v[48:49], v[48:49], v[76:77]
	v_mov_b32_e32 v79, v97
	v_pk_add_f32 v[56:57], v[56:57], v[100:101]
	v_mov_b32_e32 v101, v81
	;; [unrolled: 2-line block ×3, first 2 shown]
	v_pk_add_f32 v[48:49], v[48:49], v[80:81]
	global_store_dwordx2 v[66:67], v[48:49], off
	v_pk_mul_f32 v[48:49], v[32:33], s[14:15] op_sel:[1,0] op_sel_hi:[0,0]
	v_pk_fma_f32 v[52:53], v[4:5], s[12:13], v[48:49] op_sel_hi:[1,0,1]
	v_pk_fma_f32 v[48:49], v[4:5], s[12:13], v[48:49] op_sel_hi:[1,0,1] neg_lo:[0,0,1] neg_hi:[0,0,1]
	v_pk_mul_f32 v[66:67], v[6:7], s[26:27] op_sel:[1,0] op_sel_hi:[0,0]
	v_mov_b32_e32 v64, v52
	v_mov_b32_e32 v65, v49
	v_pk_fma_f32 v[68:69], v[2:3], s[2:3], v[66:67] op_sel_hi:[1,0,1]
	v_pk_fma_f32 v[66:67], v[2:3], s[2:3], v[66:67] op_sel_hi:[1,0,1] neg_lo:[0,0,1] neg_hi:[0,0,1]
	v_pk_add_f32 v[64:65], v[30:31], v[64:65]
	v_mov_b32_e32 v74, v68
	v_mov_b32_e32 v75, v67
	v_pk_add_f32 v[64:65], v[64:65], v[74:75]
	v_pk_mul_f32 v[74:75], v[70:71], s[20:21] op_sel:[1,0] op_sel_hi:[0,0]
	v_pk_fma_f32 v[76:77], v[26:27], s[0:1], v[74:75] op_sel_hi:[1,0,1]
	v_pk_fma_f32 v[74:75], v[26:27], s[0:1], v[74:75] op_sel_hi:[1,0,1] neg_lo:[0,0,1] neg_hi:[0,0,1]
	v_mov_b32_e32 v78, v76
	v_mov_b32_e32 v79, v75
	v_pk_add_f32 v[64:65], v[64:65], v[78:79]
	v_pk_mul_f32 v[78:79], v[72:73], s[44:45] op_sel:[1,0] op_sel_hi:[0,0]
	v_pk_fma_f32 v[80:81], v[24:25], s[8:9], v[78:79] op_sel_hi:[1,0,1]
	v_pk_fma_f32 v[78:79], v[24:25], s[8:9], v[78:79] op_sel_hi:[1,0,1] neg_lo:[0,0,1] neg_hi:[0,0,1]
	v_mov_b32_e32 v82, v80
	v_mov_b32_e32 v83, v79
	v_pk_add_f32 v[64:65], v[64:65], v[82:83]
	v_pk_mul_f32 v[82:83], v[20:21], s[28:29] op_sel:[1,0] op_sel_hi:[0,0]
	v_pk_fma_f32 v[86:87], v[18:19], s[24:25], v[82:83] op_sel_hi:[1,0,1]
	v_pk_fma_f32 v[82:83], v[18:19], s[24:25], v[82:83] op_sel_hi:[1,0,1] neg_lo:[0,0,1] neg_hi:[0,0,1]
	v_mov_b32_e32 v88, v86
	v_mov_b32_e32 v89, v83
	v_pk_add_f32 v[64:65], v[64:65], v[88:89]
	v_pk_mul_f32 v[88:89], v[22:23], s[18:19] op_sel:[1,0] op_sel_hi:[0,0]
	v_pk_fma_f32 v[90:91], v[16:17], s[16:17], v[88:89] op_sel_hi:[1,0,1]
	v_pk_fma_f32 v[88:89], v[16:17], s[16:17], v[88:89] op_sel_hi:[1,0,1] neg_lo:[0,0,1] neg_hi:[0,0,1]
	v_mov_b32_e32 v49, v53
	v_mov_b32_e32 v92, v90
	;; [unrolled: 1-line block ×3, first 2 shown]
	v_pk_add_f32 v[48:49], v[30:31], v[48:49]
	v_mov_b32_e32 v67, v69
	v_pk_add_f32 v[64:65], v[64:65], v[92:93]
	v_pk_mul_f32 v[92:93], v[12:13], s[38:39] op_sel:[1,0] op_sel_hi:[0,0]
	v_pk_add_f32 v[48:49], v[48:49], v[66:67]
	v_mov_b32_e32 v75, v77
	v_pk_fma_f32 v[94:95], v[10:11], s[22:23], v[92:93] op_sel_hi:[1,0,1]
	v_pk_fma_f32 v[92:93], v[10:11], s[22:23], v[92:93] op_sel_hi:[1,0,1] neg_lo:[0,0,1] neg_hi:[0,0,1]
	v_pk_add_f32 v[48:49], v[48:49], v[74:75]
	v_mov_b32_e32 v79, v81
	v_mov_b32_e32 v96, v94
	;; [unrolled: 1-line block ×3, first 2 shown]
	v_pk_add_f32 v[48:49], v[48:49], v[78:79]
	v_mov_b32_e32 v83, v87
	v_pk_add_f32 v[64:65], v[64:65], v[96:97]
	v_pk_mul_f32 v[96:97], v[14:15], s[6:7] op_sel:[1,0] op_sel_hi:[0,0]
	v_pk_add_f32 v[48:49], v[48:49], v[82:83]
	v_mov_b32_e32 v89, v91
	v_mov_b32_e32 v100, v98
	v_pk_fma_f32 v[98:99], v[8:9], s[4:5], v[96:97] op_sel_hi:[1,0,1]
	v_pk_fma_f32 v[96:97], v[8:9], s[4:5], v[96:97] op_sel_hi:[1,0,1] neg_lo:[0,0,1] neg_hi:[0,0,1]
	v_pk_add_f32 v[48:49], v[48:49], v[88:89]
	v_mov_b32_e32 v93, v95
	v_pk_add_f32 v[84:85], v[84:85], v[100:101]
	v_mov_b32_e32 v101, v97
	;; [unrolled: 2-line block ×3, first 2 shown]
	v_pk_add_f32 v[48:49], v[48:49], v[96:97]
	v_pk_mul_f32 v[32:33], v[32:33], s[18:19] op_sel:[1,0] op_sel_hi:[0,0]
	global_store_dwordx2 v[58:59], v[48:49], off
	v_pk_fma_f32 v[48:49], v[4:5], s[16:17], v[32:33] op_sel_hi:[1,0,1]
	v_pk_fma_f32 v[4:5], v[4:5], s[16:17], v[32:33] op_sel_hi:[1,0,1] neg_lo:[0,0,1] neg_hi:[0,0,1]
	v_pk_mul_f32 v[6:7], v[6:7], s[30:31] op_sel:[1,0] op_sel_hi:[0,0]
	v_mov_b32_e32 v32, v48
	v_mov_b32_e32 v33, v5
	v_pk_fma_f32 v[52:53], v[2:3], s[24:25], v[6:7] op_sel_hi:[1,0,1]
	v_pk_fma_f32 v[2:3], v[2:3], s[24:25], v[6:7] op_sel_hi:[1,0,1] neg_lo:[0,0,1] neg_hi:[0,0,1]
	v_pk_add_f32 v[32:33], v[30:31], v[32:33]
	v_mov_b32_e32 v6, v52
	v_mov_b32_e32 v7, v3
	v_pk_add_f32 v[6:7], v[32:33], v[6:7]
	v_pk_mul_f32 v[32:33], v[70:71], s[14:15] op_sel:[1,0] op_sel_hi:[0,0]
	v_pk_fma_f32 v[58:59], v[26:27], s[12:13], v[32:33] op_sel_hi:[1,0,1]
	v_pk_fma_f32 v[26:27], v[26:27], s[12:13], v[32:33] op_sel_hi:[1,0,1] neg_lo:[0,0,1] neg_hi:[0,0,1]
	v_mov_b32_e32 v32, v58
	v_mov_b32_e32 v33, v27
	v_pk_add_f32 v[6:7], v[6:7], v[32:33]
	v_pk_mul_f32 v[32:33], v[72:73], s[38:39] op_sel:[1,0] op_sel_hi:[0,0]
	v_pk_fma_f32 v[66:67], v[24:25], s[22:23], v[32:33] op_sel_hi:[1,0,1]
	v_pk_fma_f32 v[24:25], v[24:25], s[22:23], v[32:33] op_sel_hi:[1,0,1] neg_lo:[0,0,1] neg_hi:[0,0,1]
	v_mov_b32_e32 v32, v66
	v_mov_b32_e32 v33, v25
	v_pk_mul_f32 v[20:21], v[20:21], s[10:11] op_sel:[1,0] op_sel_hi:[0,0]
	v_pk_add_f32 v[6:7], v[6:7], v[32:33]
	v_pk_fma_f32 v[32:33], v[18:19], s[8:9], v[20:21] op_sel_hi:[1,0,1]
	v_pk_fma_f32 v[18:19], v[18:19], s[8:9], v[20:21] op_sel_hi:[1,0,1] neg_lo:[0,0,1] neg_hi:[0,0,1]
	v_mov_b32_e32 v20, v32
	v_mov_b32_e32 v21, v19
	v_pk_add_f32 v[6:7], v[6:7], v[20:21]
	v_pk_mul_f32 v[20:21], v[22:23], s[26:27] op_sel:[1,0] op_sel_hi:[0,0]
	v_mov_b32_e32 v5, v49
	v_pk_fma_f32 v[22:23], v[16:17], s[2:3], v[20:21] op_sel_hi:[1,0,1]
	v_pk_fma_f32 v[16:17], v[16:17], s[2:3], v[20:21] op_sel_hi:[1,0,1] neg_lo:[0,0,1] neg_hi:[0,0,1]
	v_pk_add_f32 v[4:5], v[30:31], v[4:5]
	v_mov_b32_e32 v3, v53
	v_mov_b32_e32 v20, v22
	;; [unrolled: 1-line block ×3, first 2 shown]
	v_pk_mul_f32 v[12:13], v[12:13], s[6:7] op_sel:[1,0] op_sel_hi:[0,0]
	v_pk_add_f32 v[2:3], v[4:5], v[2:3]
	v_mov_b32_e32 v27, v59
	v_pk_add_f32 v[6:7], v[6:7], v[20:21]
	v_pk_fma_f32 v[20:21], v[10:11], s[4:5], v[12:13] op_sel_hi:[1,0,1]
	v_pk_fma_f32 v[10:11], v[10:11], s[4:5], v[12:13] op_sel_hi:[1,0,1] neg_lo:[0,0,1] neg_hi:[0,0,1]
	v_pk_add_f32 v[2:3], v[2:3], v[26:27]
	v_mov_b32_e32 v25, v67
	v_mov_b32_e32 v12, v20
	;; [unrolled: 1-line block ×3, first 2 shown]
	v_pk_add_f32 v[2:3], v[2:3], v[24:25]
	v_mov_b32_e32 v19, v33
	v_pk_add_f32 v[6:7], v[6:7], v[12:13]
	v_pk_mul_f32 v[12:13], v[14:15], s[34:35] op_sel:[1,0] op_sel_hi:[0,0]
	v_pk_add_f32 v[2:3], v[2:3], v[18:19]
	v_mov_b32_e32 v17, v23
	v_pk_fma_f32 v[14:15], v[8:9], s[0:1], v[12:13] op_sel_hi:[1,0,1]
	v_pk_fma_f32 v[8:9], v[8:9], s[0:1], v[12:13] op_sel_hi:[1,0,1] neg_lo:[0,0,1] neg_hi:[0,0,1]
	v_pk_add_f32 v[2:3], v[2:3], v[16:17]
	v_mov_b32_e32 v11, v21
	v_mov_b32_e32 v13, v9
	v_pk_add_f32 v[2:3], v[2:3], v[10:11]
	v_mov_b32_e32 v9, v15
	v_mov_b32_e32 v100, v98
	;; [unrolled: 1-line block ×3, first 2 shown]
	v_pk_add_f32 v[2:3], v[2:3], v[8:9]
	v_pk_add_f32 v[64:65], v[64:65], v[100:101]
	;; [unrolled: 1-line block ×3, first 2 shown]
	global_store_dwordx2 v[28:29], v[2:3], off
	global_store_dwordx2 v[38:39], v[6:7], off
	;; [unrolled: 1-line block ×9, first 2 shown]
.LBB0_30:
	s_endpgm
	.section	.rodata,"a",@progbits
	.p2align	6, 0x0
	.amdhsa_kernel fft_rtc_fwd_len884_factors_13_4_17_wgs_204_tpt_68_halfLds_sp_op_CI_CI_sbrr_dirReg
		.amdhsa_group_segment_fixed_size 0
		.amdhsa_private_segment_fixed_size 0
		.amdhsa_kernarg_size 104
		.amdhsa_user_sgpr_count 6
		.amdhsa_user_sgpr_private_segment_buffer 1
		.amdhsa_user_sgpr_dispatch_ptr 0
		.amdhsa_user_sgpr_queue_ptr 0
		.amdhsa_user_sgpr_kernarg_segment_ptr 1
		.amdhsa_user_sgpr_dispatch_id 0
		.amdhsa_user_sgpr_flat_scratch_init 0
		.amdhsa_user_sgpr_kernarg_preload_length 0
		.amdhsa_user_sgpr_kernarg_preload_offset 0
		.amdhsa_user_sgpr_private_segment_size 0
		.amdhsa_uses_dynamic_stack 0
		.amdhsa_system_sgpr_private_segment_wavefront_offset 0
		.amdhsa_system_sgpr_workgroup_id_x 1
		.amdhsa_system_sgpr_workgroup_id_y 0
		.amdhsa_system_sgpr_workgroup_id_z 0
		.amdhsa_system_sgpr_workgroup_info 0
		.amdhsa_system_vgpr_workitem_id 0
		.amdhsa_next_free_vgpr 130
		.amdhsa_next_free_sgpr 74
		.amdhsa_accum_offset 132
		.amdhsa_reserve_vcc 1
		.amdhsa_reserve_flat_scratch 0
		.amdhsa_float_round_mode_32 0
		.amdhsa_float_round_mode_16_64 0
		.amdhsa_float_denorm_mode_32 3
		.amdhsa_float_denorm_mode_16_64 3
		.amdhsa_dx10_clamp 1
		.amdhsa_ieee_mode 1
		.amdhsa_fp16_overflow 0
		.amdhsa_tg_split 0
		.amdhsa_exception_fp_ieee_invalid_op 0
		.amdhsa_exception_fp_denorm_src 0
		.amdhsa_exception_fp_ieee_div_zero 0
		.amdhsa_exception_fp_ieee_overflow 0
		.amdhsa_exception_fp_ieee_underflow 0
		.amdhsa_exception_fp_ieee_inexact 0
		.amdhsa_exception_int_div_zero 0
	.end_amdhsa_kernel
	.text
.Lfunc_end0:
	.size	fft_rtc_fwd_len884_factors_13_4_17_wgs_204_tpt_68_halfLds_sp_op_CI_CI_sbrr_dirReg, .Lfunc_end0-fft_rtc_fwd_len884_factors_13_4_17_wgs_204_tpt_68_halfLds_sp_op_CI_CI_sbrr_dirReg
                                        ; -- End function
	.section	.AMDGPU.csdata,"",@progbits
; Kernel info:
; codeLenInByte = 12428
; NumSgprs: 78
; NumVgprs: 130
; NumAgprs: 0
; TotalNumVgprs: 130
; ScratchSize: 0
; MemoryBound: 0
; FloatMode: 240
; IeeeMode: 1
; LDSByteSize: 0 bytes/workgroup (compile time only)
; SGPRBlocks: 9
; VGPRBlocks: 16
; NumSGPRsForWavesPerEU: 78
; NumVGPRsForWavesPerEU: 130
; AccumOffset: 132
; Occupancy: 3
; WaveLimiterHint : 1
; COMPUTE_PGM_RSRC2:SCRATCH_EN: 0
; COMPUTE_PGM_RSRC2:USER_SGPR: 6
; COMPUTE_PGM_RSRC2:TRAP_HANDLER: 0
; COMPUTE_PGM_RSRC2:TGID_X_EN: 1
; COMPUTE_PGM_RSRC2:TGID_Y_EN: 0
; COMPUTE_PGM_RSRC2:TGID_Z_EN: 0
; COMPUTE_PGM_RSRC2:TIDIG_COMP_CNT: 0
; COMPUTE_PGM_RSRC3_GFX90A:ACCUM_OFFSET: 32
; COMPUTE_PGM_RSRC3_GFX90A:TG_SPLIT: 0
	.text
	.p2alignl 6, 3212836864
	.fill 256, 4, 3212836864
	.type	__hip_cuid_45ccc0a3601a4a2,@object ; @__hip_cuid_45ccc0a3601a4a2
	.section	.bss,"aw",@nobits
	.globl	__hip_cuid_45ccc0a3601a4a2
__hip_cuid_45ccc0a3601a4a2:
	.byte	0                               ; 0x0
	.size	__hip_cuid_45ccc0a3601a4a2, 1

	.ident	"AMD clang version 19.0.0git (https://github.com/RadeonOpenCompute/llvm-project roc-6.4.0 25133 c7fe45cf4b819c5991fe208aaa96edf142730f1d)"
	.section	".note.GNU-stack","",@progbits
	.addrsig
	.addrsig_sym __hip_cuid_45ccc0a3601a4a2
	.amdgpu_metadata
---
amdhsa.kernels:
  - .agpr_count:     0
    .args:
      - .actual_access:  read_only
        .address_space:  global
        .offset:         0
        .size:           8
        .value_kind:     global_buffer
      - .offset:         8
        .size:           8
        .value_kind:     by_value
      - .actual_access:  read_only
        .address_space:  global
        .offset:         16
        .size:           8
        .value_kind:     global_buffer
      - .actual_access:  read_only
        .address_space:  global
        .offset:         24
        .size:           8
        .value_kind:     global_buffer
      - .actual_access:  read_only
        .address_space:  global
        .offset:         32
        .size:           8
        .value_kind:     global_buffer
      - .offset:         40
        .size:           8
        .value_kind:     by_value
      - .actual_access:  read_only
        .address_space:  global
        .offset:         48
        .size:           8
        .value_kind:     global_buffer
      - .actual_access:  read_only
        .address_space:  global
        .offset:         56
        .size:           8
        .value_kind:     global_buffer
      - .offset:         64
        .size:           4
        .value_kind:     by_value
      - .actual_access:  read_only
        .address_space:  global
        .offset:         72
        .size:           8
        .value_kind:     global_buffer
      - .actual_access:  read_only
        .address_space:  global
        .offset:         80
        .size:           8
        .value_kind:     global_buffer
      - .actual_access:  read_only
        .address_space:  global
        .offset:         88
        .size:           8
        .value_kind:     global_buffer
      - .actual_access:  write_only
        .address_space:  global
        .offset:         96
        .size:           8
        .value_kind:     global_buffer
    .group_segment_fixed_size: 0
    .kernarg_segment_align: 8
    .kernarg_segment_size: 104
    .language:       OpenCL C
    .language_version:
      - 2
      - 0
    .max_flat_workgroup_size: 204
    .name:           fft_rtc_fwd_len884_factors_13_4_17_wgs_204_tpt_68_halfLds_sp_op_CI_CI_sbrr_dirReg
    .private_segment_fixed_size: 0
    .sgpr_count:     78
    .sgpr_spill_count: 0
    .symbol:         fft_rtc_fwd_len884_factors_13_4_17_wgs_204_tpt_68_halfLds_sp_op_CI_CI_sbrr_dirReg.kd
    .uniform_work_group_size: 1
    .uses_dynamic_stack: false
    .vgpr_count:     130
    .vgpr_spill_count: 0
    .wavefront_size: 64
amdhsa.target:   amdgcn-amd-amdhsa--gfx90a
amdhsa.version:
  - 1
  - 2
...

	.end_amdgpu_metadata
